;; amdgpu-corpus repo=ROCm/rocFFT kind=compiled arch=gfx906 opt=O3
	.text
	.amdgcn_target "amdgcn-amd-amdhsa--gfx906"
	.amdhsa_code_object_version 6
	.protected	bluestein_single_fwd_len1690_dim1_half_op_CI_CI ; -- Begin function bluestein_single_fwd_len1690_dim1_half_op_CI_CI
	.globl	bluestein_single_fwd_len1690_dim1_half_op_CI_CI
	.p2align	8
	.type	bluestein_single_fwd_len1690_dim1_half_op_CI_CI,@function
bluestein_single_fwd_len1690_dim1_half_op_CI_CI: ; @bluestein_single_fwd_len1690_dim1_half_op_CI_CI
; %bb.0:
	s_load_dwordx4 s[0:3], s[4:5], 0x28
	v_mul_u32_u24_e32 v1, 0x184, v0
	v_add_u32_sdwa v20, s6, v1 dst_sel:DWORD dst_unused:UNUSED_PAD src0_sel:DWORD src1_sel:WORD_1
	v_mov_b32_e32 v21, 0
	s_waitcnt lgkmcnt(0)
	v_cmp_gt_u64_e32 vcc, s[0:1], v[20:21]
	s_and_saveexec_b64 s[0:1], vcc
	s_cbranch_execz .LBB0_23
; %bb.1:
	s_load_dwordx2 s[6:7], s[4:5], 0x0
	s_load_dwordx2 s[12:13], s[4:5], 0x38
	s_movk_i32 s0, 0xa9
	v_mul_lo_u16_sdwa v1, v1, s0 dst_sel:DWORD dst_unused:UNUSED_PAD src0_sel:WORD_1 src1_sel:DWORD
	v_sub_u16_e32 v36, v0, v1
	s_movk_i32 s0, 0x82
	v_cmp_gt_u16_e64 s[0:1], s0, v36
	v_lshlrev_b32_e32 v35, 2, v36
	s_and_saveexec_b64 s[14:15], s[0:1]
	s_cbranch_execz .LBB0_3
; %bb.2:
	s_load_dwordx2 s[8:9], s[4:5], 0x18
	s_waitcnt lgkmcnt(0)
	s_load_dwordx4 s[8:11], s[8:9], 0x0
	s_waitcnt lgkmcnt(0)
	v_mad_u64_u32 v[0:1], s[16:17], s10, v20, 0
	v_mad_u64_u32 v[2:3], s[16:17], s8, v36, 0
	;; [unrolled: 1-line block ×4, first 2 shown]
	v_mov_b32_e32 v1, v4
	v_lshlrev_b64 v[0:1], 2, v[0:1]
	v_mov_b32_e32 v3, v5
	v_mov_b32_e32 v6, s3
	v_lshlrev_b64 v[2:3], 2, v[2:3]
	v_add_co_u32_e32 v0, vcc, s2, v0
	v_addc_co_u32_e32 v1, vcc, v6, v1, vcc
	v_add_co_u32_e32 v0, vcc, v0, v2
	v_addc_co_u32_e32 v1, vcc, v1, v3, vcc
	global_load_dword v4, v[0:1], off
	global_load_dword v5, v35, s[6:7]
	v_mov_b32_e32 v2, s7
	v_add_co_u32_e32 v3, vcc, s6, v35
	s_mul_i32 s3, s9, 0x208
	s_mul_hi_u32 s9, s8, 0x208
	v_addc_co_u32_e32 v13, vcc, 0, v2, vcc
	s_mulk_i32 s8, 0x208
	s_add_i32 s3, s9, s3
	v_mov_b32_e32 v2, s3
	v_add_co_u32_e32 v0, vcc, s8, v0
	v_addc_co_u32_e32 v1, vcc, v1, v2, vcc
	global_load_dword v6, v35, s[6:7] offset:520
	global_load_dword v7, v35, s[6:7] offset:1040
	;; [unrolled: 1-line block ×7, first 2 shown]
	global_load_dword v16, v[0:1], off
	v_mov_b32_e32 v14, s3
	v_add_co_u32_e32 v0, vcc, s8, v0
	v_addc_co_u32_e32 v1, vcc, v1, v14, vcc
	global_load_dword v14, v[0:1], off
	v_mov_b32_e32 v15, s3
	v_add_co_u32_e32 v0, vcc, s8, v0
	s_movk_i32 s2, 0x1000
	v_addc_co_u32_e32 v1, vcc, v1, v15, vcc
	global_load_dword v15, v[0:1], off
	v_add_co_u32_e32 v2, vcc, s2, v3
	v_addc_co_u32_e32 v3, vcc, 0, v13, vcc
	v_mov_b32_e32 v13, s3
	v_add_co_u32_e32 v0, vcc, s8, v0
	v_addc_co_u32_e32 v1, vcc, v1, v13, vcc
	global_load_dword v13, v[0:1], off
	v_mov_b32_e32 v17, s3
	v_add_co_u32_e32 v0, vcc, s8, v0
	v_addc_co_u32_e32 v1, vcc, v1, v17, vcc
	global_load_dword v17, v[0:1], off
	;; [unrolled: 4-line block ×5, first 2 shown]
	v_mov_b32_e32 v22, s3
	v_add_co_u32_e32 v0, vcc, s8, v0
	v_addc_co_u32_e32 v1, vcc, v1, v22, vcc
	global_load_dword v22, v[2:3], off offset:64
	global_load_dword v23, v[0:1], off
	v_mov_b32_e32 v27, s3
	v_add_co_u32_e32 v0, vcc, s8, v0
	v_addc_co_u32_e32 v1, vcc, v1, v27, vcc
	global_load_dword v27, v[0:1], off
	global_load_dword v29, v[2:3], off offset:1104
	v_mov_b32_e32 v28, s3
	v_add_co_u32_e32 v0, vcc, s8, v0
	s_waitcnt vmcnt(20)
	v_lshrrev_b32_e32 v24, 16, v4
	s_waitcnt vmcnt(19)
	v_mul_f16_sdwa v25, v5, v4 dst_sel:DWORD dst_unused:UNUSED_PAD src0_sel:WORD_1 src1_sel:DWORD
	v_mul_f16_sdwa v26, v5, v24 dst_sel:DWORD dst_unused:UNUSED_PAD src0_sel:WORD_1 src1_sel:DWORD
	v_fma_f16 v24, v5, v24, -v25
	global_load_dword v25, v[2:3], off offset:584
	v_addc_co_u32_e32 v1, vcc, v1, v28, vcc
	global_load_dword v28, v[0:1], off
	global_load_dword v30, v[2:3], off offset:1624
	v_fma_f16 v4, v5, v4, v26
	v_mov_b32_e32 v5, s3
	v_add_co_u32_e32 v0, vcc, s8, v0
	v_addc_co_u32_e32 v1, vcc, v1, v5, vcc
	global_load_dword v5, v[0:1], off
	global_load_dword v26, v[2:3], off offset:2144
	v_pack_b32_f16 v0, v4, v24
	s_waitcnt vmcnt(16)
	v_lshrrev_b32_e32 v1, 16, v16
	v_mul_f16_sdwa v2, v6, v1 dst_sel:DWORD dst_unused:UNUSED_PAD src0_sel:WORD_1 src1_sel:DWORD
	v_mul_f16_sdwa v3, v6, v16 dst_sel:DWORD dst_unused:UNUSED_PAD src0_sel:WORD_1 src1_sel:DWORD
	v_fma_f16 v2, v6, v16, v2
	v_fma_f16 v1, v6, v1, -v3
	v_pack_b32_f16 v1, v2, v1
	ds_write2_b32 v35, v0, v1 offset1:130
	s_waitcnt vmcnt(15)
	v_lshrrev_b32_e32 v0, 16, v14
	v_mul_f16_sdwa v1, v7, v0 dst_sel:DWORD dst_unused:UNUSED_PAD src0_sel:WORD_1 src1_sel:DWORD
	v_mul_f16_sdwa v2, v7, v14 dst_sel:DWORD dst_unused:UNUSED_PAD src0_sel:WORD_1 src1_sel:DWORD
	v_fma_f16 v1, v7, v14, v1
	v_fma_f16 v0, v7, v0, -v2
	v_pack_b32_f16 v0, v1, v0
	s_waitcnt vmcnt(14)
	v_lshrrev_b32_e32 v1, 16, v15
	v_mul_f16_sdwa v2, v8, v1 dst_sel:DWORD dst_unused:UNUSED_PAD src0_sel:WORD_1 src1_sel:DWORD
	v_mul_f16_sdwa v3, v8, v15 dst_sel:DWORD dst_unused:UNUSED_PAD src0_sel:WORD_1 src1_sel:DWORD
	v_fma_f16 v2, v8, v15, v2
	v_fma_f16 v1, v8, v1, -v3
	v_pack_b32_f16 v1, v2, v1
	v_add_u32_e32 v2, 0x400, v35
	ds_write2_b32 v2, v0, v1 offset0:4 offset1:134
	s_waitcnt vmcnt(13)
	v_lshrrev_b32_e32 v0, 16, v13
	v_mul_f16_sdwa v1, v9, v0 dst_sel:DWORD dst_unused:UNUSED_PAD src0_sel:WORD_1 src1_sel:DWORD
	v_mul_f16_sdwa v2, v9, v13 dst_sel:DWORD dst_unused:UNUSED_PAD src0_sel:WORD_1 src1_sel:DWORD
	v_fma_f16 v1, v9, v13, v1
	v_fma_f16 v0, v9, v0, -v2
	v_pack_b32_f16 v0, v1, v0
	s_waitcnt vmcnt(12)
	v_lshrrev_b32_e32 v1, 16, v17
	v_mul_f16_sdwa v2, v10, v1 dst_sel:DWORD dst_unused:UNUSED_PAD src0_sel:WORD_1 src1_sel:DWORD
	v_mul_f16_sdwa v3, v10, v17 dst_sel:DWORD dst_unused:UNUSED_PAD src0_sel:WORD_1 src1_sel:DWORD
	v_fma_f16 v2, v10, v17, v2
	v_fma_f16 v1, v10, v1, -v3
	v_pack_b32_f16 v1, v2, v1
	v_add_u32_e32 v2, 0x800, v35
	ds_write2_b32 v2, v0, v1 offset0:8 offset1:138
	s_waitcnt vmcnt(11)
	v_lshrrev_b32_e32 v0, 16, v18
	v_mul_f16_sdwa v1, v11, v0 dst_sel:DWORD dst_unused:UNUSED_PAD src0_sel:WORD_1 src1_sel:DWORD
	v_mul_f16_sdwa v2, v11, v18 dst_sel:DWORD dst_unused:UNUSED_PAD src0_sel:WORD_1 src1_sel:DWORD
	v_fma_f16 v1, v11, v18, v1
	v_fma_f16 v0, v11, v0, -v2
	v_pack_b32_f16 v0, v1, v0
	s_waitcnt vmcnt(10)
	v_lshrrev_b32_e32 v1, 16, v19
	v_mul_f16_sdwa v2, v12, v1 dst_sel:DWORD dst_unused:UNUSED_PAD src0_sel:WORD_1 src1_sel:DWORD
	v_mul_f16_sdwa v3, v12, v19 dst_sel:DWORD dst_unused:UNUSED_PAD src0_sel:WORD_1 src1_sel:DWORD
	v_fma_f16 v2, v12, v19, v2
	v_fma_f16 v1, v12, v1, -v3
	v_pack_b32_f16 v1, v2, v1
	v_add_u32_e32 v2, 0xc00, v35
	ds_write2_b32 v2, v0, v1 offset0:12 offset1:142
	s_waitcnt vmcnt(9)
	v_lshrrev_b32_e32 v0, 16, v21
	s_waitcnt vmcnt(8)
	v_mul_f16_sdwa v1, v22, v0 dst_sel:DWORD dst_unused:UNUSED_PAD src0_sel:WORD_1 src1_sel:DWORD
	v_mul_f16_sdwa v2, v22, v21 dst_sel:DWORD dst_unused:UNUSED_PAD src0_sel:WORD_1 src1_sel:DWORD
	v_fma_f16 v1, v22, v21, v1
	v_fma_f16 v0, v22, v0, -v2
	v_pack_b32_f16 v0, v1, v0
	s_waitcnt vmcnt(7)
	v_lshrrev_b32_e32 v1, 16, v23
	s_waitcnt vmcnt(4)
	v_mul_f16_sdwa v2, v25, v1 dst_sel:DWORD dst_unused:UNUSED_PAD src0_sel:WORD_1 src1_sel:DWORD
	v_mul_f16_sdwa v3, v25, v23 dst_sel:DWORD dst_unused:UNUSED_PAD src0_sel:WORD_1 src1_sel:DWORD
	v_fma_f16 v2, v25, v23, v2
	v_fma_f16 v1, v25, v1, -v3
	v_pack_b32_f16 v1, v2, v1
	v_add_u32_e32 v2, 0x1000, v35
	ds_write2_b32 v2, v0, v1 offset0:16 offset1:146
	v_lshrrev_b32_e32 v0, 16, v27
	v_mul_f16_sdwa v1, v29, v0 dst_sel:DWORD dst_unused:UNUSED_PAD src0_sel:WORD_1 src1_sel:DWORD
	v_mul_f16_sdwa v2, v29, v27 dst_sel:DWORD dst_unused:UNUSED_PAD src0_sel:WORD_1 src1_sel:DWORD
	v_fma_f16 v1, v29, v27, v1
	v_fma_f16 v0, v29, v0, -v2
	v_pack_b32_f16 v0, v1, v0
	s_waitcnt vmcnt(3)
	v_lshrrev_b32_e32 v1, 16, v28
	s_waitcnt vmcnt(2)
	v_mul_f16_sdwa v2, v30, v1 dst_sel:DWORD dst_unused:UNUSED_PAD src0_sel:WORD_1 src1_sel:DWORD
	v_mul_f16_sdwa v3, v30, v28 dst_sel:DWORD dst_unused:UNUSED_PAD src0_sel:WORD_1 src1_sel:DWORD
	v_fma_f16 v2, v30, v28, v2
	v_fma_f16 v1, v30, v1, -v3
	v_pack_b32_f16 v1, v2, v1
	v_add_u32_e32 v2, 0x1400, v35
	ds_write2_b32 v2, v0, v1 offset0:20 offset1:150
	s_waitcnt vmcnt(1)
	v_lshrrev_b32_e32 v0, 16, v5
	s_waitcnt vmcnt(0)
	v_mul_f16_sdwa v1, v26, v0 dst_sel:DWORD dst_unused:UNUSED_PAD src0_sel:WORD_1 src1_sel:DWORD
	v_mul_f16_sdwa v2, v26, v5 dst_sel:DWORD dst_unused:UNUSED_PAD src0_sel:WORD_1 src1_sel:DWORD
	v_fma_f16 v1, v26, v5, v1
	v_fma_f16 v0, v26, v0, -v2
	v_pack_b32_f16 v0, v1, v0
	ds_write_b32 v35, v0 offset:6240
.LBB0_3:
	s_or_b64 exec, exec, s[14:15]
	s_load_dwordx2 s[8:9], s[4:5], 0x20
	s_load_dwordx2 s[2:3], s[4:5], 0x8
	v_mov_b32_e32 v0, 0
	s_waitcnt lgkmcnt(0)
	s_barrier
	s_waitcnt lgkmcnt(0)
                                        ; implicit-def: $vgpr12
                                        ; implicit-def: $vgpr11
                                        ; implicit-def: $vgpr9
                                        ; implicit-def: $vgpr7
                                        ; implicit-def: $vgpr5
                                        ; implicit-def: $vgpr3
	s_and_saveexec_b64 s[4:5], s[0:1]
	s_cbranch_execz .LBB0_5
; %bb.4:
	v_add_u32_e32 v2, 0x400, v35
	v_add_u32_e32 v4, 0x800, v35
	;; [unrolled: 1-line block ×5, first 2 shown]
	ds_read2_b32 v[0:1], v35 offset1:130
	ds_read2_b32 v[2:3], v2 offset0:4 offset1:134
	ds_read2_b32 v[4:5], v4 offset0:8 offset1:138
	;; [unrolled: 1-line block ×5, first 2 shown]
	ds_read_b32 v12, v35 offset:6240
.LBB0_5:
	s_or_b64 exec, exec, s[4:5]
	s_waitcnt lgkmcnt(0)
	v_pk_add_f16 v13, v1, v12 neg_lo:[0,1] neg_hi:[0,1]
	s_mov_b32 s4, 0xb770
	v_pk_add_f16 v14, v12, v1
	s_movk_i32 s10, 0x3b15
	v_mul_f16_sdwa v29, v13, s4 dst_sel:DWORD dst_unused:UNUSED_PAD src0_sel:WORD_1 src1_sel:DWORD
	v_fma_f16 v15, v14, s10, v29
	v_lshrrev_b32_e32 v23, 16, v14
	s_movk_i32 s11, 0x388b
	v_mul_f16_e32 v39, 0xba95, v13
	s_mov_b32 s23, 0xbbf1
	v_add_f16_e32 v17, v15, v0
	v_fma_f16 v15, v23, s11, -v39
	s_movk_i32 s14, 0x2fb7
	v_mul_f16_sdwa v45, v13, s23 dst_sel:DWORD dst_unused:UNUSED_PAD src0_sel:WORD_1 src1_sel:DWORD
	v_add_f16_sdwa v18, v15, v0 dst_sel:DWORD dst_unused:UNUSED_PAD src0_sel:DWORD src1_sel:WORD_1
	v_mul_f16_e32 v48, 0xbbf1, v13
	v_fma_f16 v15, v14, s14, v45
	v_add_f16_e32 v19, v15, v0
	v_fma_f16 v15, v23, s14, -v48
	s_mov_b32 s24, 0xba95
	v_add_f16_sdwa v21, v15, v0 dst_sel:DWORD dst_unused:UNUSED_PAD src0_sel:DWORD src1_sel:WORD_1
	v_pk_add_f16 v15, v2, v11 neg_lo:[0,1] neg_hi:[0,1]
	v_pk_add_f16 v16, v11, v2
	v_mul_f16_sdwa v32, v15, s24 dst_sel:DWORD dst_unused:UNUSED_PAD src0_sel:WORD_1 src1_sel:DWORD
	v_fma_f16 v22, v16, s11, v32
	v_lshrrev_b32_e32 v26, 16, v16
	s_mov_b32 s15, 0xb5ac
	v_mul_f16_e32 v44, 0xbb7b, v15
	s_mov_b32 s16, 0xb3a8
	v_add_f16_e32 v22, v22, v17
	v_fma_f16 v17, v26, s15, -v44
	s_mov_b32 s17, 0xbbc4
	v_mul_f16_sdwa v49, v15, s16 dst_sel:DWORD dst_unused:UNUSED_PAD src0_sel:WORD_1 src1_sel:DWORD
	v_add_f16_e32 v24, v17, v18
	v_fma_f16 v17, v16, s17, v49
	v_mul_f16_e32 v53, 0xb3a8, v15
	v_add_f16_e32 v19, v17, v19
	v_fma_f16 v17, v26, s17, -v53
	v_add_f16_e32 v21, v17, v21
	v_pk_add_f16 v17, v3, v10 neg_lo:[0,1] neg_hi:[0,1]
	v_pk_add_f16 v18, v10, v3
	v_mul_f16_sdwa v42, v17, s23 dst_sel:DWORD dst_unused:UNUSED_PAD src0_sel:WORD_1 src1_sel:DWORD
	v_fma_f16 v25, v18, s14, v42
	v_lshrrev_b32_e32 v30, 16, v18
	v_mul_f16_e32 v47, 0xb3a8, v17
	s_movk_i32 s4, 0x3b7b
	v_add_f16_e32 v22, v25, v22
	v_fma_f16 v25, v30, s17, -v47
	v_mul_f16_sdwa v52, v17, s4 dst_sel:DWORD dst_unused:UNUSED_PAD src0_sel:WORD_1 src1_sel:DWORD
	v_add_f16_e32 v25, v25, v24
	v_fma_f16 v24, v18, s15, v52
	v_mul_f16_e32 v57, 0x3b7b, v17
	v_add_f16_e32 v27, v24, v19
	v_fma_f16 v19, v30, s15, -v57
	v_add_f16_e32 v21, v19, v21
	s_mov_b32 s18, 0xbb7b
	v_pk_add_f16 v19, v4, v9 neg_lo:[0,1] neg_hi:[0,1]
	v_pk_add_f16 v24, v9, v4
	v_mul_f16_sdwa v46, v19, s18 dst_sel:DWORD dst_unused:UNUSED_PAD src0_sel:WORD_1 src1_sel:DWORD
	v_fma_f16 v28, v24, s15, v46
	s_mov_b32 s20, 0xb9fd
	v_lshrrev_b32_e32 v38, 16, v24
	v_mul_f16_e32 v51, 0x394e, v19
	s_movk_i32 s19, 0x3770
	v_add_f16_e32 v22, v28, v22
	v_fma_f16 v28, v38, s20, -v51
	v_mul_f16_sdwa v58, v19, s19 dst_sel:DWORD dst_unused:UNUSED_PAD src0_sel:WORD_1 src1_sel:DWORD
	v_add_f16_e32 v28, v28, v25
	v_fma_f16 v25, v24, s10, v58
	v_mul_f16_e32 v61, 0x3770, v19
	v_add_f16_e32 v31, v25, v27
	v_fma_f16 v25, v38, s10, -v61
	v_add_f16_e32 v21, v25, v21
	s_mov_b32 s21, 0xb94e
	v_pk_add_f16 v25, v5, v8 neg_lo:[0,1] neg_hi:[0,1]
	v_pk_add_f16 v27, v8, v5
	v_mul_f16_sdwa v50, v25, s21 dst_sel:DWORD dst_unused:UNUSED_PAD src0_sel:WORD_1 src1_sel:DWORD
	v_fma_f16 v33, v27, s20, v50
	v_lshrrev_b32_e32 v43, 16, v27
	v_mul_f16_e32 v56, 0x3bf1, v25
	v_add_f16_e32 v22, v33, v22
	v_fma_f16 v33, v43, s14, -v56
	v_mul_f16_sdwa v59, v25, s24 dst_sel:DWORD dst_unused:UNUSED_PAD src0_sel:WORD_1 src1_sel:DWORD
	v_add_f16_e32 v34, v33, v28
	v_fma_f16 v28, v27, s11, v59
	v_mul_f16_e32 v66, 0xba95, v25
	v_add_f16_e32 v37, v28, v31
	v_fma_f16 v28, v43, s11, -v66
	v_add_f16_e32 v40, v28, v21
	v_pk_add_f16 v28, v6, v7 neg_lo:[0,1] neg_hi:[0,1]
	s_mov_b32 s4, 0x3b15388b
	v_pk_add_f16 v31, v7, v6
	v_mul_f16_sdwa v54, v28, s16 dst_sel:DWORD dst_unused:UNUSED_PAD src0_sel:WORD_1 src1_sel:DWORD
	s_mov_b32 s5, 0xba95b770
	s_mov_b32 s22, 0x388bb5ac
	v_pk_mul_f16 v41, v14, s4
	v_fma_f16 v21, v31, s17, v54
	s_mov_b32 s25, 0xbb7bba95
	s_mov_b32 s26, 0x2fb7bbc4
	v_pk_fma_f16 v60, v13, s5, v41 op_sel:[0,0,1] op_sel_hi:[1,1,0]
	v_pk_mul_f16 v70, v16, s22
	v_add_f16_e32 v33, v21, v22
	s_mov_b32 s27, 0xb3a8bbf1
	s_mov_b32 s28, 0xb5acb9fd
	v_pk_fma_f16 v62, v15, s25, v70 op_sel:[0,0,1] op_sel_hi:[1,1,0]
	v_add_f16_sdwa v21, v60, v0 dst_sel:DWORD dst_unused:UNUSED_PAD src0_sel:WORD_1 src1_sel:DWORD
	v_pk_mul_f16 v71, v18, s26
	s_mov_b32 s29, 0x394ebb7b
	s_mov_b32 s30, 0xb9fd2fb7
	v_add_f16_sdwa v21, v62, v21 dst_sel:DWORD dst_unused:UNUSED_PAD src0_sel:WORD_1 src1_sel:DWORD
	v_pk_fma_f16 v63, v17, s27, v71 op_sel:[0,0,1] op_sel_hi:[1,1,0]
	v_pk_mul_f16 v72, v24, s28
	s_mov_b32 s31, 0x3bf1b94e
	v_add_f16_sdwa v21, v63, v21 dst_sel:DWORD dst_unused:UNUSED_PAD src0_sel:WORD_1 src1_sel:DWORD
	v_pk_fma_f16 v64, v19, s29, v72 op_sel:[0,0,1] op_sel_hi:[1,1,0]
	v_pk_mul_f16 v73, v27, s30
	v_lshrrev_b32_e32 v55, 16, v31
	v_mul_f16_e32 v68, 0x3770, v28
	v_add_f16_sdwa v21, v64, v21 dst_sel:DWORD dst_unused:UNUSED_PAD src0_sel:WORD_1 src1_sel:DWORD
	v_pk_fma_f16 v65, v25, s31, v73 op_sel:[0,0,1] op_sel_hi:[1,1,0]
	v_mul_f16_sdwa v75, v28, s21 dst_sel:DWORD dst_unused:UNUSED_PAD src0_sel:WORD_1 src1_sel:DWORD
	v_fma_f16 v69, v55, s10, -v68
	v_mul_f16_e32 v76, 0xb94e, v28
	s_mov_b32 s33, 0xbbc43b15
	v_add_f16_sdwa v22, v65, v21 dst_sel:DWORD dst_unused:UNUSED_PAD src0_sel:WORD_1 src1_sel:DWORD
	v_fma_f16 v21, v31, s20, v75
	v_add_f16_e32 v34, v69, v34
	v_fma_f16 v69, v55, s20, -v76
	s_mov_b32 s34, 0x3770b3a8
	v_add_f16_e32 v21, v21, v37
	v_pk_mul_f16 v37, v31, s33
	v_add_f16_e32 v40, v69, v40
	v_pk_fma_f16 v69, v13, s5, v41 op_sel:[0,0,1] op_sel_hi:[1,1,0] neg_lo:[1,0,0] neg_hi:[1,0,0]
	v_pk_fma_f16 v67, v28, s34, v37 op_sel:[0,0,1] op_sel_hi:[1,1,0]
	v_pk_fma_f16 v70, v15, s25, v70 op_sel:[0,0,1] op_sel_hi:[1,1,0] neg_lo:[1,0,0] neg_hi:[1,0,0]
	v_pk_fma_f16 v74, v28, s34, v37 op_sel:[0,0,1] op_sel_hi:[1,1,0] neg_lo:[1,0,0] neg_hi:[1,0,0]
	v_add_f16_sdwa v37, v69, v0 dst_sel:DWORD dst_unused:UNUSED_PAD src0_sel:DWORD src1_sel:WORD_1
	v_pk_fma_f16 v71, v17, s27, v71 op_sel:[0,0,1] op_sel_hi:[1,1,0] neg_lo:[1,0,0] neg_hi:[1,0,0]
	v_add_f16_e32 v37, v70, v37
	v_pk_fma_f16 v72, v19, s29, v72 op_sel:[0,0,1] op_sel_hi:[1,1,0] neg_lo:[1,0,0] neg_hi:[1,0,0]
	v_add_f16_e32 v37, v71, v37
	;; [unrolled: 2-line block ×3, first 2 shown]
	v_add_f16_e32 v37, v73, v37
	v_add_f16_sdwa v22, v67, v22 dst_sel:DWORD dst_unused:UNUSED_PAD src0_sel:WORD_1 src1_sel:DWORD
	s_movk_i32 s25, 0x394e
	s_movk_i32 s22, 0x3bf1
	v_add_f16_e32 v41, v74, v37
	v_mul_lo_u16_e32 v37, 13, v36
	s_barrier
	s_and_saveexec_b64 s[4:5], s[0:1]
	s_cbranch_execz .LBB0_7
; %bb.6:
	v_mul_f16_e32 v77, 0xb94e, v13
	v_fma_f16 v78, v23, s20, v77
	v_mul_f16_e32 v79, 0x3bf1, v15
	v_add_f16_sdwa v78, v78, v0 dst_sel:DWORD dst_unused:UNUSED_PAD src0_sel:DWORD src1_sel:WORD_1
	v_fma_f16 v80, v26, s14, v79
	v_add_f16_e32 v78, v80, v78
	v_mul_f16_e32 v80, 0xba95, v17
	v_fma_f16 v81, v30, s11, v80
	v_add_f16_e32 v78, v81, v78
	v_mul_f16_e32 v81, 0x33a8, v19
	;; [unrolled: 3-line block ×4, first 2 shown]
	v_fma_f16 v84, v55, s15, v83
	v_add_f16_e32 v78, v84, v78
	v_mul_f16_sdwa v84, v13, s21 dst_sel:DWORD dst_unused:UNUSED_PAD src0_sel:WORD_1 src1_sel:DWORD
	v_fma_f16 v85, v14, s20, -v84
	v_mul_f16_sdwa v86, v15, s22 dst_sel:DWORD dst_unused:UNUSED_PAD src0_sel:WORD_1 src1_sel:DWORD
	v_add_f16_e32 v85, v85, v0
	v_fma_f16 v87, v16, s14, -v86
	v_add_f16_e32 v85, v87, v85
	v_mul_f16_sdwa v87, v17, s24 dst_sel:DWORD dst_unused:UNUSED_PAD src0_sel:WORD_1 src1_sel:DWORD
	v_fma_f16 v88, v18, s11, -v87
	s_movk_i32 s24, 0x33a8
	v_add_f16_e32 v85, v88, v85
	v_mul_f16_sdwa v88, v19, s24 dst_sel:DWORD dst_unused:UNUSED_PAD src0_sel:WORD_1 src1_sel:DWORD
	v_fma_f16 v89, v24, s17, -v88
	v_add_f16_e32 v85, v89, v85
	v_mul_f16_sdwa v89, v25, s19 dst_sel:DWORD dst_unused:UNUSED_PAD src0_sel:WORD_1 src1_sel:DWORD
	v_fma_f16 v90, v27, s10, -v89
	;; [unrolled: 3-line block ×3, first 2 shown]
	v_add_f16_e32 v85, v91, v85
	v_mul_f16_e32 v91, 0xbb7b, v13
	v_fma_f16 v92, v23, s15, v91
	v_mul_f16_e32 v93, 0x394e, v15
	v_add_f16_sdwa v92, v92, v0 dst_sel:DWORD dst_unused:UNUSED_PAD src0_sel:DWORD src1_sel:WORD_1
	v_fma_f16 v94, v26, s20, v93
	v_add_f16_e32 v92, v94, v92
	v_mul_f16_e32 v94, 0x3770, v17
	v_fma_f16 v95, v30, s10, v94
	v_add_f16_e32 v92, v95, v92
	v_mul_f16_e32 v95, 0xbbf1, v19
	;; [unrolled: 3-line block ×4, first 2 shown]
	v_fma_f16 v98, v55, s11, v97
	v_add_f16_e32 v92, v98, v92
	v_mul_f16_sdwa v98, v13, s18 dst_sel:DWORD dst_unused:UNUSED_PAD src0_sel:WORD_1 src1_sel:DWORD
	v_fma_f16 v99, v14, s15, -v98
	v_mul_f16_sdwa v100, v15, s25 dst_sel:DWORD dst_unused:UNUSED_PAD src0_sel:WORD_1 src1_sel:DWORD
	v_add_f16_e32 v99, v99, v0
	v_fma_f16 v101, v16, s20, -v100
	v_add_f16_e32 v99, v101, v99
	v_mul_f16_sdwa v101, v17, s19 dst_sel:DWORD dst_unused:UNUSED_PAD src0_sel:WORD_1 src1_sel:DWORD
	v_fma_f16 v102, v18, s10, -v101
	v_add_f16_e32 v99, v102, v99
	v_mul_f16_sdwa v102, v19, s23 dst_sel:DWORD dst_unused:UNUSED_PAD src0_sel:WORD_1 src1_sel:DWORD
	;; [unrolled: 3-line block ×3, first 2 shown]
	v_fma_f16 v104, v27, s17, -v103
	s_movk_i32 s23, 0x3a95
	v_add_f16_e32 v99, v104, v99
	v_mul_f16_sdwa v104, v28, s23 dst_sel:DWORD dst_unused:UNUSED_PAD src0_sel:WORD_1 src1_sel:DWORD
	v_fma_f16 v105, v31, s11, -v104
	v_add_f16_e32 v99, v105, v99
	v_mul_f16_e32 v105, 0x2fb7, v23
	v_add_f16_e32 v48, v48, v105
	v_mul_f16_e32 v105, 0xbbc4, v26
	v_add_f16_e32 v53, v53, v105
	v_add_f16_sdwa v48, v48, v0 dst_sel:DWORD dst_unused:UNUSED_PAD src0_sel:DWORD src1_sel:WORD_1
	v_add_f16_e32 v48, v53, v48
	v_mul_f16_e32 v53, 0xb5ac, v30
	v_add_f16_e32 v53, v57, v53
	v_add_f16_e32 v48, v53, v48
	v_mul_f16_e32 v53, 0x3b15, v38
	v_add_f16_e32 v53, v61, v53
	;; [unrolled: 3-line block ×4, first 2 shown]
	v_add_f16_e32 v48, v53, v48
	v_mul_f16_e32 v53, 0x2fb7, v14
	v_sub_f16_e32 v45, v53, v45
	v_mul_f16_e32 v53, 0xbbc4, v16
	v_sub_f16_e32 v49, v53, v49
	v_add_f16_e32 v45, v45, v0
	v_add_f16_e32 v45, v49, v45
	v_mul_f16_e32 v49, 0xb5ac, v18
	v_sub_f16_e32 v49, v49, v52
	v_add_f16_e32 v45, v49, v45
	v_mul_f16_e32 v49, 0x3b15, v24
	v_sub_f16_e32 v49, v49, v58
	;; [unrolled: 3-line block ×4, first 2 shown]
	v_add_f16_e32 v45, v49, v45
	v_mul_f16_e32 v49, 0x388b, v23
	v_add_f16_e32 v39, v39, v49
	v_mul_f16_e32 v49, 0xb5ac, v26
	v_add_f16_e32 v44, v44, v49
	v_add_f16_sdwa v39, v39, v0 dst_sel:DWORD dst_unused:UNUSED_PAD src0_sel:DWORD src1_sel:WORD_1
	v_add_f16_e32 v39, v44, v39
	v_mul_f16_e32 v44, 0xbbc4, v30
	v_add_f16_e32 v44, v47, v44
	v_add_f16_e32 v39, v44, v39
	v_mul_f16_e32 v44, 0xb9fd, v38
	v_add_f16_e32 v44, v51, v44
	;; [unrolled: 3-line block ×3, first 2 shown]
	v_mul_f16_e32 v56, 0x3b15, v14
	v_sub_f16_e32 v29, v56, v29
	v_mul_f16_e32 v56, 0x388b, v16
	v_sub_f16_e32 v32, v56, v32
	v_add_f16_e32 v29, v29, v0
	v_add_f16_e32 v29, v32, v29
	v_mul_f16_e32 v32, 0x2fb7, v18
	v_sub_f16_e32 v32, v32, v42
	v_add_f16_e32 v29, v32, v29
	v_mul_f16_e32 v32, 0xb5ac, v24
	v_sub_f16_e32 v32, v32, v46
	;; [unrolled: 3-line block ×3, first 2 shown]
	v_mul_f16_e32 v46, 0xbbc4, v31
	v_add_f16_e32 v29, v32, v29
	v_sub_f16_e32 v32, v46, v54
	v_add_f16_e32 v29, v32, v29
	v_fma_f16 v32, v23, s20, -v77
	v_fma_f16 v23, v23, s15, -v91
	v_add_f16_sdwa v32, v32, v0 dst_sel:DWORD dst_unused:UNUSED_PAD src0_sel:DWORD src1_sel:WORD_1
	v_fma_f16 v46, v26, s14, -v79
	v_add_f16_sdwa v23, v23, v0 dst_sel:DWORD dst_unused:UNUSED_PAD src0_sel:DWORD src1_sel:WORD_1
	v_fma_f16 v26, v26, s20, -v93
	v_alignbit_b32 v42, v0, v0, 16
	v_add_f16_e32 v32, v46, v32
	v_fma_f16 v46, v30, s11, -v80
	v_add_f16_e32 v23, v26, v23
	v_fma_f16 v26, v30, s10, -v94
	v_add_f16_e32 v39, v44, v39
	v_mul_f16_e32 v44, 0x3b15, v55
	v_pk_add_f16 v1, v1, v42 op_sel:[0,1] op_sel_hi:[1,0]
	v_add_f16_e32 v32, v46, v32
	v_fma_f16 v46, v38, s17, -v81
	v_add_f16_e32 v23, v26, v23
	v_fma_f16 v26, v38, s14, -v95
	v_add_f16_e32 v44, v68, v44
	s_mov_b32 s24, 0xffff
	v_add_f16_e32 v32, v46, v32
	v_fma_f16 v46, v43, s10, -v82
	v_add_f16_e32 v23, v26, v23
	v_fma_f16 v26, v43, s17, -v96
	v_pk_add_f16 v1, v2, v1
	v_add_f16_e32 v39, v44, v39
	v_bfi_b32 v44, s24, v60, v69
	v_add_f16_e32 v32, v46, v32
	v_fma_f16 v46, v55, s15, -v83
	v_add_f16_e32 v23, v26, v23
	v_fma_f16 v26, v55, s11, -v97
	v_pk_add_f16 v1, v3, v1
	v_bfi_b32 v47, s24, v62, v70
	v_add_f16_e32 v32, v46, v32
	v_fma_f16 v46, v14, s20, v84
	v_add_f16_e32 v23, v26, v23
	v_fma_f16 v26, v14, s15, v98
	v_pk_add_f16 v1, v4, v1
	v_pk_add_f16 v2, v44, v42
	v_bfi_b32 v49, s24, v63, v71
	v_add_f16_e32 v46, v46, v0
	v_add_f16_e32 v0, v26, v0
	v_fma_f16 v26, v16, s20, v100
	v_pk_add_f16 v1, v5, v1
	v_pk_add_f16 v2, v47, v2
	v_bfi_b32 v51, s24, v64, v72
	v_add_f16_e32 v0, v26, v0
	v_fma_f16 v26, v18, s10, v101
	v_pk_add_f16 v1, v6, v1
	v_pk_add_f16 v2, v49, v2
	v_bfi_b32 v52, s24, v65, v73
	;; [unrolled: 5-line block ×3, first 2 shown]
	v_add_f16_e32 v0, v26, v0
	v_fma_f16 v26, v27, s17, v103
	v_pk_add_f16 v1, v8, v1
	v_pk_add_f16 v2, v52, v2
	v_add_f16_e32 v0, v26, v0
	v_fma_f16 v26, v31, s11, v104
	v_pk_add_f16 v1, v9, v1
	v_pk_add_f16 v2, v53, v2
	v_add_f16_e32 v0, v26, v0
	v_lshlrev_b32_e32 v26, 2, v37
	v_pk_add_f16 v1, v10, v1
	v_alignbit_b32 v3, v39, v2, 16
	v_pack_b32_f16 v2, v29, v2
	v_pk_add_f16 v1, v11, v1
	ds_write2_b32 v26, v2, v3 offset0:1 offset1:2
	v_pack_b32_f16 v2, v45, v48
	v_pack_b32_f16 v3, v99, v92
	v_pk_add_f16 v1, v12, v1
	ds_write2_b32 v26, v2, v3 offset0:3 offset1:4
	v_pack_b32_f16 v2, v85, v78
	ds_write2_b32 v26, v1, v2 offset1:5
	v_pk_mul_f16 v1, v14, s17 op_sel_hi:[1,0]
	v_pk_fma_f16 v2, v13, s16, v1 op_sel:[0,0,1] op_sel_hi:[1,0,0] neg_lo:[1,0,0] neg_hi:[1,0,0]
	v_pk_mul_f16 v3, v16, s10 op_sel_hi:[1,0]
	v_pk_add_f16 v2, v2, v42
	v_pk_fma_f16 v4, v15, s19, v3 op_sel:[0,0,1] op_sel_hi:[1,0,0] neg_lo:[1,0,0] neg_hi:[1,0,0]
	v_pk_add_f16 v2, v4, v2
	v_pk_mul_f16 v4, v18, s20 op_sel_hi:[1,0]
	v_pk_fma_f16 v5, v17, s21, v4 op_sel:[0,0,1] op_sel_hi:[1,0,0] neg_lo:[1,0,0] neg_hi:[1,0,0]
	v_pk_add_f16 v2, v5, v2
	v_pk_mul_f16 v5, v24, s11 op_sel_hi:[1,0]
	v_pk_fma_f16 v1, v13, s16, v1 op_sel:[0,0,1] op_sel_hi:[1,0,0]
	v_pk_fma_f16 v6, v19, s23, v5 op_sel:[0,0,1] op_sel_hi:[1,0,0] neg_lo:[1,0,0] neg_hi:[1,0,0]
	v_pk_add_f16 v1, v1, v42
	v_pk_fma_f16 v3, v15, s19, v3 op_sel:[0,0,1] op_sel_hi:[1,0,0]
	v_fma_f16 v50, v16, s14, v86
	v_pk_add_f16 v2, v6, v2
	v_pk_mul_f16 v6, v27, s15 op_sel_hi:[1,0]
	v_pk_add_f16 v1, v3, v1
	v_pk_fma_f16 v3, v17, s21, v4 op_sel:[0,0,1] op_sel_hi:[1,0,0]
	v_add_f16_e32 v46, v50, v46
	v_fma_f16 v50, v18, s11, v87
	v_pk_fma_f16 v7, v25, s18, v6 op_sel:[0,0,1] op_sel_hi:[1,0,0] neg_lo:[1,0,0] neg_hi:[1,0,0]
	v_pk_add_f16 v1, v3, v1
	v_pk_fma_f16 v3, v19, s23, v5 op_sel:[0,0,1] op_sel_hi:[1,0,0]
	v_add_f16_e32 v46, v50, v46
	v_fma_f16 v50, v24, s17, v88
	v_pk_add_f16 v2, v7, v2
	v_pk_mul_f16 v7, v31, s14 op_sel_hi:[1,0]
	v_pk_add_f16 v1, v3, v1
	v_pk_fma_f16 v3, v25, s18, v6 op_sel:[0,0,1] op_sel_hi:[1,0,0]
	v_add_f16_e32 v46, v50, v46
	v_fma_f16 v50, v27, s10, v89
	v_pk_fma_f16 v8, v28, s22, v7 op_sel:[0,0,1] op_sel_hi:[1,0,0] neg_lo:[1,0,0] neg_hi:[1,0,0]
	v_pk_add_f16 v1, v3, v1
	v_pk_fma_f16 v3, v28, s22, v7 op_sel:[0,0,1] op_sel_hi:[1,0,0]
	v_add_f16_e32 v46, v50, v46
	v_fma_f16 v50, v31, s15, v90
	v_pk_add_f16 v2, v8, v2
	v_pk_add_f16 v1, v3, v1
	v_add_f16_e32 v46, v50, v46
	v_alignbit_b32 v3, v2, v1, 16
	v_alignbit_b32 v1, v1, v2, 16
	ds_write2_b32 v26, v1, v3 offset0:6 offset1:7
	v_pack_b32_f16 v0, v0, v23
	v_pack_b32_f16 v1, v46, v32
	s_mov_b32 s10, 0x5040100
	ds_write2_b32 v26, v1, v0 offset0:8 offset1:9
	v_perm_b32 v0, v34, v22, s10
	v_perm_b32 v1, v40, v21, s10
	ds_write2_b32 v26, v1, v0 offset0:10 offset1:11
	v_perm_b32 v0, v41, v33, s10
	ds_write_b32 v26, v0 offset:48
.LBB0_7:
	s_or_b64 exec, exec, s[4:5]
	s_movk_i32 s4, 0x4f
	v_mul_lo_u16_sdwa v0, v36, s4 dst_sel:DWORD dst_unused:UNUSED_PAD src0_sel:BYTE_0 src1_sel:DWORD
	v_lshrrev_b16_e32 v39, 10, v0
	v_mul_lo_u16_e32 v0, 13, v39
	v_sub_u16_e32 v0, v36, v0
	v_and_b32_e32 v52, 0xff, v0
	v_mad_u64_u32 v[8:9], s[4:5], v52, 36, s[2:3]
	s_load_dwordx4 s[8:11], s[8:9], 0x0
	s_waitcnt lgkmcnt(0)
	s_barrier
	global_load_dwordx4 v[0:3], v[8:9], off
	global_load_dwordx4 v[4:7], v[8:9], off offset:16
	global_load_dword v38, v[8:9], off offset:32
	v_add_u32_e32 v9, 0x400, v35
	v_add_u32_e32 v14, 0xa00, v35
	;; [unrolled: 1-line block ×3, first 2 shown]
	ds_read2_b32 v[10:11], v35 offset1:169
	v_add_u32_e32 v8, 0x1400, v35
	ds_read2_b32 v[12:13], v9 offset0:82 offset1:251
	ds_read2_b32 v[14:15], v14 offset0:36 offset1:205
	ds_read2_b32 v[16:17], v16 offset0:54 offset1:223
	ds_read2_b32 v[18:19], v8 offset0:72 offset1:241
	s_movk_i32 s4, 0x3b9c
	s_waitcnt lgkmcnt(3)
	v_lshrrev_b32_e32 v25, 16, v12
	s_waitcnt lgkmcnt(2)
	v_lshrrev_b32_e32 v27, 16, v14
	;; [unrolled: 2-line block ×3, first 2 shown]
	v_lshrrev_b32_e32 v24, 16, v11
	s_waitcnt lgkmcnt(0)
	v_lshrrev_b32_e32 v31, 16, v18
	v_lshrrev_b32_e32 v26, 16, v13
	;; [unrolled: 1-line block ×3, first 2 shown]
	s_movk_i32 s5, 0x38b4
	s_mov_b32 s15, 0xbb9c
	v_lshrrev_b32_e32 v23, 16, v10
	s_movk_i32 s14, 0x34f2
	s_mov_b32 s16, 0xb8b4
	v_lshrrev_b32_e32 v30, 16, v17
	v_lshrrev_b32_e32 v32, 16, v19
	s_movk_i32 s17, 0x3a79
	s_waitcnt vmcnt(0)
	s_barrier
	v_mul_f16_sdwa v44, v25, v1 dst_sel:DWORD dst_unused:UNUSED_PAD src0_sel:DWORD src1_sel:WORD_1
	v_mul_f16_sdwa v48, v27, v3 dst_sel:DWORD dst_unused:UNUSED_PAD src0_sel:DWORD src1_sel:WORD_1
	;; [unrolled: 1-line block ×10, first 2 shown]
	v_fma_f16 v12, v12, v1, -v44
	v_fma_f16 v14, v14, v3, -v48
	;; [unrolled: 1-line block ×3, first 2 shown]
	v_mul_f16_sdwa v46, v26, v2 dst_sel:DWORD dst_unused:UNUSED_PAD src0_sel:DWORD src1_sel:WORD_1
	v_mul_f16_sdwa v47, v13, v2 dst_sel:DWORD dst_unused:UNUSED_PAD src0_sel:DWORD src1_sel:WORD_1
	v_fma_f16 v11, v11, v0, -v42
	v_fma_f16 v24, v24, v0, v43
	v_fma_f16 v25, v25, v1, v45
	v_fma_f16 v18, v18, v7, -v57
	v_fma_f16 v31, v31, v7, v58
	v_add_f16_e32 v42, v10, v12
	v_add_f16_e32 v43, v14, v16
	v_fma_f16 v13, v13, v2, -v46
	v_fma_f16 v26, v26, v2, v47
	v_fma_f16 v27, v27, v3, v49
	;; [unrolled: 1-line block ×3, first 2 shown]
	v_sub_f16_e32 v44, v25, v31
	v_sub_f16_e32 v46, v12, v14
	;; [unrolled: 1-line block ×3, first 2 shown]
	v_add_f16_e32 v48, v12, v18
	v_add_f16_e32 v42, v42, v14
	v_fma_f16 v43, v43, -0.5, v10
	v_mul_f16_sdwa v50, v28, v4 dst_sel:DWORD dst_unused:UNUSED_PAD src0_sel:DWORD src1_sel:WORD_1
	v_sub_f16_e32 v45, v27, v29
	v_add_f16_e32 v46, v46, v47
	v_fma_f16 v10, v48, -0.5, v10
	v_add_f16_e32 v42, v42, v16
	v_fma_f16 v47, v44, s4, v43
	v_mul_f16_sdwa v51, v15, v4 dst_sel:DWORD dst_unused:UNUSED_PAD src0_sel:DWORD src1_sel:WORD_1
	v_fma_f16 v15, v15, v4, -v50
	v_fma_f16 v48, v45, s15, v10
	v_add_f16_e32 v50, v42, v18
	v_fma_f16 v42, v45, s5, v47
	v_sub_f16_e32 v49, v14, v12
	v_fma_f16 v47, v44, s5, v48
	v_fma_f16 v48, v46, s14, v42
	v_sub_f16_e32 v42, v16, v18
	v_fma_f16 v10, v45, s4, v10
	v_add_f16_e32 v42, v49, v42
	v_fma_f16 v10, v44, s16, v10
	v_fma_f16 v47, v42, s14, v47
	;; [unrolled: 1-line block ×3, first 2 shown]
	v_add_f16_e32 v42, v23, v25
	v_add_f16_e32 v42, v42, v27
	;; [unrolled: 1-line block ×5, first 2 shown]
	v_fma_f16 v43, v44, s15, v43
	v_fma_f16 v42, v42, -0.5, v23
	v_sub_f16_e32 v12, v12, v18
	v_fma_f16 v43, v45, s16, v43
	v_fma_f16 v18, v12, s15, v42
	v_sub_f16_e32 v14, v14, v16
	v_fma_f16 v28, v28, v4, v51
	v_fma_f16 v51, v46, s14, v43
	;; [unrolled: 1-line block ×3, first 2 shown]
	v_sub_f16_e32 v18, v25, v27
	v_sub_f16_e32 v43, v31, v29
	v_fma_f16 v42, v12, s4, v42
	v_add_f16_e32 v18, v18, v43
	v_fma_f16 v42, v14, s5, v42
	v_fma_f16 v16, v18, s14, v16
	;; [unrolled: 1-line block ×3, first 2 shown]
	v_add_f16_e32 v42, v25, v31
	v_mul_f16_sdwa v55, v30, v6 dst_sel:DWORD dst_unused:UNUSED_PAD src0_sel:DWORD src1_sel:WORD_1
	v_fma_f16 v23, v42, -0.5, v23
	v_mul_f16_sdwa v56, v17, v6 dst_sel:DWORD dst_unused:UNUSED_PAD src0_sel:DWORD src1_sel:WORD_1
	v_mul_f16_sdwa v60, v19, v38 dst_sel:DWORD dst_unused:UNUSED_PAD src0_sel:DWORD src1_sel:WORD_1
	v_fma_f16 v17, v17, v6, -v55
	v_fma_f16 v42, v14, s4, v23
	v_sub_f16_e32 v25, v27, v25
	v_sub_f16_e32 v27, v29, v31
	v_fma_f16 v14, v14, s15, v23
	v_mul_f16_sdwa v59, v32, v38 dst_sel:DWORD dst_unused:UNUSED_PAD src0_sel:DWORD src1_sel:WORD_1
	v_fma_f16 v32, v32, v38, v60
	v_fma_f16 v42, v12, s16, v42
	v_add_f16_e32 v25, v25, v27
	v_fma_f16 v12, v12, s5, v14
	v_add_f16_e32 v23, v15, v17
	v_fma_f16 v30, v30, v6, v56
	v_fma_f16 v19, v19, v38, -v59
	v_fma_f16 v53, v25, s14, v42
	v_fma_f16 v12, v25, s14, v12
	v_fma_f16 v23, v23, -0.5, v11
	v_sub_f16_e32 v25, v26, v32
	v_fma_f16 v27, v25, s4, v23
	v_sub_f16_e32 v29, v28, v30
	v_sub_f16_e32 v31, v13, v15
	;; [unrolled: 1-line block ×3, first 2 shown]
	v_fma_f16 v23, v25, s15, v23
	v_fma_f16 v27, v29, s5, v27
	v_add_f16_e32 v31, v31, v42
	v_fma_f16 v23, v29, s16, v23
	v_fma_f16 v43, v31, s14, v27
	;; [unrolled: 1-line block ×3, first 2 shown]
	v_add_f16_e32 v23, v13, v19
	v_add_f16_e32 v14, v11, v13
	v_fma_f16 v11, v23, -0.5, v11
	v_fma_f16 v23, v29, s15, v11
	v_sub_f16_e32 v27, v15, v13
	v_sub_f16_e32 v42, v17, v19
	v_fma_f16 v23, v25, s5, v23
	v_add_f16_e32 v27, v27, v42
	v_fma_f16 v44, v27, s14, v23
	v_add_f16_e32 v23, v24, v26
	v_add_f16_e32 v23, v23, v28
	;; [unrolled: 1-line block ×7, first 2 shown]
	v_fma_f16 v23, v23, -0.5, v24
	v_sub_f16_e32 v13, v13, v19
	v_add_f16_e32 v14, v14, v19
	v_fma_f16 v11, v29, s4, v11
	v_fma_f16 v19, v13, s15, v23
	v_sub_f16_e32 v15, v15, v17
	v_fma_f16 v11, v25, s16, v11
	v_fma_f16 v17, v15, s16, v19
	v_sub_f16_e32 v19, v26, v28
	v_sub_f16_e32 v25, v32, v30
	v_fma_f16 v23, v13, s4, v23
	v_add_f16_e32 v19, v19, v25
	v_fma_f16 v23, v15, s5, v23
	v_fma_f16 v17, v19, s14, v17
	;; [unrolled: 1-line block ×3, first 2 shown]
	v_add_f16_e32 v23, v26, v32
	v_fma_f16 v23, v23, -0.5, v24
	v_fma_f16 v24, v15, s4, v23
	v_sub_f16_e32 v25, v28, v26
	v_sub_f16_e32 v26, v30, v32
	v_fma_f16 v15, v15, s15, v23
	v_fma_f16 v11, v27, s14, v11
	;; [unrolled: 1-line block ×3, first 2 shown]
	v_add_f16_e32 v25, v25, v26
	v_fma_f16 v13, v13, s5, v15
	v_fma_f16 v13, v25, s14, v13
	v_mul_f16_e32 v26, 0x34f2, v11
	v_fma_f16 v28, v25, s14, v24
	v_mul_f16_e32 v15, 0x38b4, v17
	v_fma_f16 v32, v13, s4, -v26
	v_mul_f16_e32 v29, 0xb8b4, v43
	v_mul_f16_e32 v13, 0x34f2, v13
	v_fma_f16 v15, v43, s17, v15
	v_mul_f16_e32 v25, 0x3b9c, v28
	v_fma_f16 v17, v17, s17, v29
	v_mul_f16_e32 v29, 0xbb9c, v44
	v_fma_f16 v11, v11, s15, -v13
	v_mul_f16_e32 v13, 0x3a79, v19
	v_add_f16_e32 v23, v50, v14
	v_add_f16_e32 v24, v48, v15
	v_fma_f16 v30, v44, s14, v25
	v_add_f16_e32 v26, v10, v32
	v_mul_f16_e32 v27, 0x3a79, v31
	v_add_f16_e32 v42, v49, v54
	v_add_f16_e32 v43, v16, v17
	v_fma_f16 v56, v28, s14, v29
	v_fma_f16 v13, v31, s16, -v13
	v_sub_f16_e32 v31, v10, v32
	v_mul_u32_u24_e32 v10, 0x82, v39
	v_add_f16_e32 v25, v47, v30
	v_fma_f16 v55, v19, s5, -v27
	v_add_f16_e32 v44, v53, v56
	v_add_f16_e32 v45, v12, v11
	v_sub_f16_e32 v28, v50, v14
	v_sub_f16_e32 v50, v12, v11
	v_add_lshl_u32 v39, v10, v52, 2
	v_pack_b32_f16 v10, v23, v42
	v_pack_b32_f16 v11, v24, v43
	v_add_f16_e32 v27, v51, v55
	v_add_f16_e32 v46, v18, v13
	v_sub_f16_e32 v30, v47, v30
	v_sub_f16_e32 v47, v49, v54
	ds_write2_b32 v39, v10, v11 offset1:13
	v_pack_b32_f16 v10, v25, v44
	v_pack_b32_f16 v11, v26, v45
	v_sub_f16_e32 v29, v48, v15
	v_sub_f16_e32 v48, v16, v17
	;; [unrolled: 1-line block ×3, first 2 shown]
	ds_write2_b32 v39, v10, v11 offset0:26 offset1:39
	v_pack_b32_f16 v10, v27, v46
	v_pack_b32_f16 v11, v28, v47
	v_sub_f16_e32 v32, v51, v55
	v_sub_f16_e32 v51, v18, v13
	ds_write2_b32 v39, v10, v11 offset0:52 offset1:65
	v_pack_b32_f16 v10, v29, v48
	v_pack_b32_f16 v11, v30, v49
	ds_write2_b32 v39, v10, v11 offset0:78 offset1:91
	v_pack_b32_f16 v10, v31, v50
	v_pack_b32_f16 v11, v32, v51
	ds_write2_b32 v39, v10, v11 offset0:104 offset1:117
	s_waitcnt lgkmcnt(0)
	s_barrier
	s_and_saveexec_b64 s[4:5], s[0:1]
	s_cbranch_execz .LBB0_9
; %bb.8:
	ds_read2_b32 v[23:24], v35 offset1:130
	ds_read2_b32 v[25:26], v9 offset0:4 offset1:134
	v_add_u32_e32 v9, 0x800, v35
	ds_read2_b32 v[27:28], v9 offset0:8 offset1:138
	v_add_u32_e32 v9, 0xc00, v35
	;; [unrolled: 2-line block ×3, first 2 shown]
	ds_read2_b32 v[31:32], v9 offset0:16 offset1:146
	ds_read2_b32 v[21:22], v8 offset0:20 offset1:150
	ds_read_b32 v33, v35 offset:6240
	s_waitcnt lgkmcnt(6)
	v_lshrrev_b32_e32 v42, 16, v23
	v_lshrrev_b32_e32 v43, 16, v24
	s_waitcnt lgkmcnt(5)
	v_lshrrev_b32_e32 v44, 16, v25
	v_lshrrev_b32_e32 v45, 16, v26
	;; [unrolled: 3-line block ×6, first 2 shown]
	s_waitcnt lgkmcnt(0)
	v_lshrrev_b32_e32 v41, 16, v33
.LBB0_9:
	s_or_b64 exec, exec, s[4:5]
	v_add_u32_e32 v8, 0xffffff7e, v36
	v_cndmask_b32_e64 v8, v8, v36, s[0:1]
	v_mul_hi_i32_i24_e32 v9, 48, v8
	v_mul_i32_i24_e32 v8, 48, v8
	v_mov_b32_e32 v10, s3
	v_add_co_u32_e32 v52, vcc, s2, v8
	v_addc_co_u32_e32 v53, vcc, v10, v9, vcc
	global_load_dwordx4 v[12:15], v[52:53], off offset:468
	global_load_dwordx4 v[8:11], v[52:53], off offset:484
	;; [unrolled: 1-line block ×3, first 2 shown]
	s_movk_i32 s2, 0x3b15
	s_movk_i32 s4, 0x388b
	;; [unrolled: 1-line block ×3, first 2 shown]
	s_mov_b32 s5, 0xb5ac
	s_mov_b32 s14, 0xb9fd
	;; [unrolled: 1-line block ×3, first 2 shown]
	s_waitcnt vmcnt(2)
	v_mul_f16_sdwa v52, v43, v12 dst_sel:DWORD dst_unused:UNUSED_PAD src0_sel:DWORD src1_sel:WORD_1
	v_mul_f16_sdwa v53, v24, v12 dst_sel:DWORD dst_unused:UNUSED_PAD src0_sel:DWORD src1_sel:WORD_1
	;; [unrolled: 1-line block ×4, first 2 shown]
	s_waitcnt vmcnt(0)
	v_mul_f16_sdwa v70, v40, v17 dst_sel:DWORD dst_unused:UNUSED_PAD src0_sel:DWORD src1_sel:WORD_1
	v_mul_f16_sdwa v71, v21, v17 dst_sel:DWORD dst_unused:UNUSED_PAD src0_sel:DWORD src1_sel:WORD_1
	v_mul_f16_sdwa v74, v41, v19 dst_sel:DWORD dst_unused:UNUSED_PAD src0_sel:DWORD src1_sel:WORD_1
	v_mul_f16_sdwa v75, v33, v19 dst_sel:DWORD dst_unused:UNUSED_PAD src0_sel:DWORD src1_sel:WORD_1
	v_fma_f16 v24, v24, v12, -v52
	v_fma_f16 v43, v43, v12, v53
	v_mul_f16_sdwa v56, v45, v14 dst_sel:DWORD dst_unused:UNUSED_PAD src0_sel:DWORD src1_sel:WORD_1
	v_mul_f16_sdwa v57, v26, v14 dst_sel:DWORD dst_unused:UNUSED_PAD src0_sel:DWORD src1_sel:WORD_1
	v_fma_f16 v25, v25, v13, -v54
	v_fma_f16 v44, v44, v13, v55
	v_fma_f16 v52, v21, v17, -v70
	v_fma_f16 v53, v40, v17, v71
	;; [unrolled: 2-line block ×3, first 2 shown]
	v_add_f16_e32 v40, v23, v24
	v_add_f16_e32 v41, v42, v43
	v_mul_f16_sdwa v58, v46, v15 dst_sel:DWORD dst_unused:UNUSED_PAD src0_sel:DWORD src1_sel:WORD_1
	v_mul_f16_sdwa v59, v27, v15 dst_sel:DWORD dst_unused:UNUSED_PAD src0_sel:DWORD src1_sel:WORD_1
	v_fma_f16 v26, v26, v14, -v56
	v_fma_f16 v45, v45, v14, v57
	v_add_f16_e32 v40, v40, v25
	v_add_f16_e32 v41, v41, v44
	v_mul_f16_sdwa v60, v47, v8 dst_sel:DWORD dst_unused:UNUSED_PAD src0_sel:DWORD src1_sel:WORD_1
	v_mul_f16_sdwa v61, v28, v8 dst_sel:DWORD dst_unused:UNUSED_PAD src0_sel:DWORD src1_sel:WORD_1
	v_fma_f16 v27, v27, v15, -v58
	v_fma_f16 v46, v46, v15, v59
	;; [unrolled: 6-line block ×6, first 2 shown]
	v_add_f16_e32 v40, v40, v30
	v_add_f16_e32 v41, v41, v49
	v_fma_f16 v32, v32, v16, -v68
	v_fma_f16 v51, v51, v16, v69
	v_add_f16_e32 v40, v40, v31
	v_add_f16_e32 v41, v41, v50
	v_mul_f16_sdwa v72, v34, v18 dst_sel:DWORD dst_unused:UNUSED_PAD src0_sel:DWORD src1_sel:WORD_1
	v_mul_f16_sdwa v73, v22, v18 dst_sel:DWORD dst_unused:UNUSED_PAD src0_sel:DWORD src1_sel:WORD_1
	v_add_f16_e32 v40, v40, v32
	v_add_f16_e32 v41, v41, v51
	v_fma_f16 v22, v22, v18, -v72
	v_fma_f16 v34, v34, v18, v73
	v_add_f16_e32 v54, v24, v21
	v_sub_f16_e32 v24, v24, v21
	v_add_f16_e32 v40, v40, v52
	v_add_f16_e32 v41, v41, v53
	;; [unrolled: 1-line block ×3, first 2 shown]
	v_sub_f16_e32 v43, v43, v33
	v_mul_f16_e32 v57, 0xb770, v24
	v_add_f16_e32 v40, v40, v22
	v_add_f16_e32 v41, v41, v34
	v_mul_f16_e32 v60, 0xba95, v24
	v_mul_f16_e32 v64, 0xbbf1, v24
	;; [unrolled: 1-line block ×6, first 2 shown]
	v_fma_f16 v59, v55, s2, v57
	v_fma_f16 v57, v55, s2, -v57
	v_add_f16_e32 v21, v40, v21
	v_add_f16_e32 v40, v41, v33
	v_mul_f16_e32 v41, 0xba95, v43
	v_fma_f16 v61, v55, s4, v60
	v_fma_f16 v60, v55, s4, -v60
	v_mul_f16_e32 v62, 0xbbf1, v43
	v_fma_f16 v65, v55, s3, v64
	v_fma_f16 v64, v55, s3, -v64
	;; [unrolled: 3-line block ×5, first 2 shown]
	v_fma_f16 v58, v54, s2, -v56
	v_fma_f16 v56, v54, s2, v56
	v_add_f16_e32 v59, v42, v59
	v_add_f16_e32 v33, v42, v57
	v_fma_f16 v57, v54, s4, -v41
	v_add_f16_e32 v61, v42, v61
	v_fma_f16 v41, v54, s4, v41
	v_add_f16_e32 v60, v42, v60
	v_fma_f16 v63, v54, s3, -v62
	v_add_f16_e32 v65, v42, v65
	v_fma_f16 v62, v54, s3, v62
	;; [unrolled: 4-line block ×5, first 2 shown]
	v_add_f16_e32 v24, v42, v24
	v_add_f16_e32 v42, v25, v22
	v_sub_f16_e32 v22, v25, v22
	v_add_f16_e32 v58, v23, v58
	v_add_f16_e32 v56, v23, v56
	;; [unrolled: 1-line block ×13, first 2 shown]
	v_sub_f16_e32 v25, v44, v34
	v_mul_f16_e32 v54, 0xba95, v22
	v_mul_f16_e32 v34, 0xba95, v25
	v_fma_f16 v55, v43, s4, v54
	v_fma_f16 v54, v43, s4, -v54
	v_fma_f16 v44, v42, s4, -v34
	v_fma_f16 v34, v42, s4, v34
	v_add_f16_e32 v33, v54, v33
	v_mul_f16_e32 v54, 0xbb7b, v25
	v_add_f16_e32 v34, v34, v56
	v_fma_f16 v56, v42, s5, -v54
	v_add_f16_e32 v56, v56, v57
	v_mul_f16_e32 v57, 0xbb7b, v22
	v_fma_f16 v54, v42, s5, v54
	v_add_f16_e32 v44, v44, v58
	v_fma_f16 v58, v43, s5, v57
	v_add_f16_e32 v41, v54, v41
	v_fma_f16 v54, v43, s5, -v57
	v_mul_f16_e32 v57, 0xb3a8, v25
	v_add_f16_e32 v55, v55, v59
	v_add_f16_e32 v54, v54, v60
	v_fma_f16 v59, v42, s15, -v57
	v_mul_f16_e32 v60, 0xb3a8, v22
	v_fma_f16 v57, v42, s15, v57
	v_add_f16_e32 v58, v58, v61
	v_fma_f16 v61, v43, s15, v60
	v_add_f16_e32 v57, v57, v62
	v_fma_f16 v60, v43, s15, -v60
	v_mul_f16_e32 v62, 0x394e, v25
	v_add_f16_e32 v59, v59, v63
	v_add_f16_e32 v60, v60, v64
	v_fma_f16 v63, v42, s14, -v62
	;; [unrolled: 10-line block ×3, first 2 shown]
	v_mul_f16_e32 v68, 0x3bf1, v22
	v_fma_f16 v66, v42, s3, v66
	v_mul_f16_e32 v25, 0x3770, v25
	v_mul_f16_e32 v22, 0x3770, v22
	v_add_f16_e32 v67, v67, v71
	v_add_f16_e32 v66, v66, v70
	v_fma_f16 v70, v42, s2, -v25
	v_fma_f16 v71, v43, s2, v22
	v_fma_f16 v25, v42, s2, v25
	v_fma_f16 v22, v43, s2, -v22
	v_sub_f16_e32 v42, v45, v53
	v_add_f16_e32 v65, v65, v69
	v_fma_f16 v69, v43, s3, v68
	v_fma_f16 v68, v43, s3, -v68
	v_add_f16_e32 v22, v22, v24
	v_add_f16_e32 v24, v26, v52
	v_mul_f16_e32 v43, 0xbbf1, v42
	v_add_f16_e32 v23, v25, v23
	v_add_f16_e32 v25, v45, v53
	v_sub_f16_e32 v26, v26, v52
	v_fma_f16 v45, v24, s3, -v43
	v_add_f16_e32 v44, v45, v44
	v_mul_f16_e32 v45, 0xbbf1, v26
	v_fma_f16 v43, v24, s3, v43
	v_add_f16_e32 v34, v43, v34
	v_fma_f16 v43, v25, s3, -v45
	v_add_f16_e32 v33, v43, v33
	v_mul_f16_e32 v43, 0xb3a8, v42
	v_fma_f16 v52, v25, s3, v45
	v_fma_f16 v45, v24, s15, -v43
	v_mul_f16_e32 v53, 0xb3a8, v26
	v_fma_f16 v43, v24, s15, v43
	v_add_f16_e32 v52, v52, v55
	v_fma_f16 v55, v25, s15, v53
	v_add_f16_e32 v41, v43, v41
	v_fma_f16 v43, v25, s15, -v53
	v_mul_f16_e32 v53, 0x3b7b, v42
	v_add_f16_e32 v43, v43, v54
	v_fma_f16 v54, v24, s5, -v53
	v_fma_f16 v53, v24, s5, v53
	v_add_f16_e32 v45, v45, v56
	v_mul_f16_e32 v56, 0x3b7b, v26
	v_add_f16_e32 v53, v53, v57
	v_mul_f16_e32 v57, 0x3770, v42
	v_add_f16_e32 v55, v55, v58
	v_add_f16_e32 v54, v54, v59
	v_fma_f16 v58, v25, s5, v56
	v_fma_f16 v56, v25, s5, -v56
	v_fma_f16 v59, v24, s2, -v57
	v_fma_f16 v57, v24, s2, v57
	v_add_f16_e32 v56, v56, v60
	v_mul_f16_e32 v60, 0x3770, v26
	v_add_f16_e32 v57, v57, v62
	v_mul_f16_e32 v62, 0xba95, v42
	v_add_f16_e32 v58, v58, v61
	v_add_f16_e32 v59, v59, v63
	v_fma_f16 v61, v25, s2, v60
	v_fma_f16 v60, v25, s2, -v60
	v_fma_f16 v63, v24, s4, -v62
	v_fma_f16 v62, v24, s4, v62
	v_mul_f16_e32 v42, 0xb94e, v42
	v_add_f16_e32 v60, v60, v64
	v_mul_f16_e32 v64, 0xba95, v26
	v_add_f16_e32 v62, v62, v66
	v_fma_f16 v66, v24, s14, -v42
	v_mul_f16_e32 v26, 0xb94e, v26
	v_fma_f16 v24, v24, s14, v42
	v_add_f16_e32 v23, v24, v23
	v_fma_f16 v24, v25, s14, -v26
	v_add_f16_e32 v63, v63, v67
	v_fma_f16 v67, v25, s14, v26
	v_add_f16_e32 v22, v24, v22
	v_add_f16_e32 v24, v27, v32
	v_sub_f16_e32 v26, v27, v32
	v_sub_f16_e32 v27, v46, v51
	v_mul_f16_e32 v32, 0xbb7b, v27
	v_fma_f16 v42, v24, s5, -v32
	v_add_f16_e32 v61, v61, v65
	v_fma_f16 v65, v25, s4, v64
	v_fma_f16 v64, v25, s4, -v64
	v_add_f16_e32 v25, v46, v51
	v_add_f16_e32 v42, v42, v44
	v_mul_f16_e32 v44, 0xbb7b, v26
	v_fma_f16 v32, v24, s5, v32
	v_add_f16_e32 v32, v32, v34
	v_fma_f16 v34, v25, s5, -v44
	v_add_f16_e32 v33, v34, v33
	v_mul_f16_e32 v34, 0x394e, v27
	v_fma_f16 v46, v25, s5, v44
	v_fma_f16 v44, v24, s14, -v34
	v_add_f16_e32 v44, v44, v45
	v_mul_f16_e32 v45, 0x394e, v26
	v_fma_f16 v34, v24, s14, v34
	v_add_f16_e32 v34, v34, v41
	v_fma_f16 v41, v25, s14, -v45
	v_add_f16_e32 v41, v41, v43
	v_mul_f16_e32 v43, 0x3770, v27
	v_fma_f16 v51, v25, s14, v45
	v_fma_f16 v45, v24, s2, -v43
	v_fma_f16 v43, v24, s2, v43
	v_add_f16_e32 v46, v46, v52
	v_mul_f16_e32 v52, 0x3770, v26
	v_add_f16_e32 v43, v43, v53
	v_mul_f16_e32 v53, 0xbbf1, v27
	v_add_f16_e32 v51, v51, v55
	v_add_f16_e32 v45, v45, v54
	v_fma_f16 v54, v25, s2, v52
	v_fma_f16 v52, v25, s2, -v52
	v_fma_f16 v55, v24, s3, -v53
	v_fma_f16 v53, v24, s3, v53
	v_add_f16_e32 v52, v52, v56
	v_mul_f16_e32 v56, 0xbbf1, v26
	v_add_f16_e32 v53, v53, v57
	v_mul_f16_e32 v57, 0x33a8, v27
	v_add_f16_e32 v54, v54, v58
	v_add_f16_e32 v55, v55, v59
	v_fma_f16 v58, v25, s3, v56
	v_fma_f16 v56, v25, s3, -v56
	v_fma_f16 v59, v24, s15, -v57
	v_fma_f16 v57, v24, s15, v57
	v_mul_f16_e32 v27, 0x3a95, v27
	v_add_f16_e32 v56, v56, v60
	v_mul_f16_e32 v60, 0x33a8, v26
	v_add_f16_e32 v57, v57, v62
	v_fma_f16 v62, v24, s4, -v27
	v_mul_f16_e32 v26, 0x3a95, v26
	v_fma_f16 v24, v24, s4, v27
	v_add_f16_e32 v23, v24, v23
	v_fma_f16 v24, v25, s4, -v26
	v_sub_f16_e32 v27, v47, v50
	v_add_f16_e32 v59, v59, v63
	v_fma_f16 v63, v25, s4, v26
	v_add_f16_e32 v22, v24, v22
	v_add_f16_e32 v24, v28, v31
	v_sub_f16_e32 v26, v28, v31
	v_mul_f16_e32 v28, 0xb94e, v27
	v_fma_f16 v31, v24, s14, -v28
	v_add_f16_e32 v58, v58, v61
	v_fma_f16 v61, v25, s15, v60
	v_fma_f16 v60, v25, s15, -v60
	v_add_f16_e32 v25, v47, v50
	v_add_f16_e32 v31, v31, v42
	v_mul_f16_e32 v42, 0xb94e, v26
	v_fma_f16 v28, v24, s14, v28
	v_add_f16_e32 v28, v28, v32
	v_fma_f16 v32, v25, s14, -v42
	v_add_f16_e32 v32, v32, v33
	v_mul_f16_e32 v33, 0x3bf1, v27
	v_fma_f16 v47, v25, s14, v42
	v_fma_f16 v42, v24, s3, -v33
	v_add_f16_e32 v42, v42, v44
	v_mul_f16_e32 v44, 0x3bf1, v26
	v_fma_f16 v33, v24, s3, v33
	v_add_f16_e32 v33, v33, v34
	v_fma_f16 v34, v25, s3, -v44
	v_add_f16_e32 v34, v34, v41
	v_mul_f16_e32 v41, 0xba95, v27
	v_add_f16_e32 v46, v47, v46
	v_fma_f16 v47, v25, s3, v44
	v_fma_f16 v44, v24, s4, -v41
	v_add_f16_e32 v45, v44, v45
	v_mul_f16_e32 v44, 0xba95, v26
	v_fma_f16 v41, v24, s4, v41
	v_add_f16_e32 v47, v47, v51
	v_add_f16_e32 v51, v41, v43
	v_fma_f16 v41, v25, s4, -v44
	v_add_f16_e32 v52, v41, v52
	v_mul_f16_e32 v41, 0x33a8, v27
	v_fma_f16 v50, v25, s4, v44
	v_fma_f16 v43, v24, s15, -v41
	v_add_f16_e32 v50, v50, v54
	v_add_f16_e32 v54, v43, v55
	v_mul_f16_e32 v43, 0x33a8, v26
	v_fma_f16 v41, v24, s15, v41
	v_add_f16_e32 v53, v41, v53
	v_fma_f16 v41, v25, s15, -v43
	v_add_f16_e32 v56, v41, v56
	v_mul_f16_e32 v41, 0x3770, v27
	v_add_f16_e32 v68, v68, v72
	v_fma_f16 v44, v25, s15, v43
	v_fma_f16 v43, v24, s2, -v41
	v_add_f16_e32 v69, v69, v73
	v_add_f16_e32 v70, v70, v74
	;; [unrolled: 1-line block ×5, first 2 shown]
	v_mul_f16_e32 v43, 0x3770, v26
	v_fma_f16 v41, v24, s2, v41
	v_add_f16_e32 v71, v71, v75
	v_add_f16_e32 v65, v65, v69
	;; [unrolled: 1-line block ×5, first 2 shown]
	v_fma_f16 v41, v25, s2, -v43
	v_mul_f16_e32 v27, 0xbb7b, v27
	v_add_f16_e32 v67, v67, v71
	v_add_f16_e32 v61, v61, v65
	;; [unrolled: 1-line block ×3, first 2 shown]
	v_fma_f16 v44, v25, s2, v43
	v_add_f16_e32 v60, v41, v60
	v_fma_f16 v41, v24, s5, -v27
	v_mul_f16_e32 v26, 0xbb7b, v26
	v_add_f16_e32 v63, v63, v67
	v_add_f16_e32 v59, v44, v61
	;; [unrolled: 1-line block ×3, first 2 shown]
	v_fma_f16 v41, v25, s5, v26
	v_fma_f16 v24, v24, s5, v27
	v_add_f16_e32 v62, v41, v63
	v_add_f16_e32 v63, v24, v23
	v_fma_f16 v23, v25, s5, -v26
	v_sub_f16_e32 v67, v29, v30
	v_sub_f16_e32 v68, v48, v49
	v_add_f16_e32 v64, v23, v22
	v_add_f16_e32 v65, v29, v30
	;; [unrolled: 1-line block ×3, first 2 shown]
	v_mul_f16_e32 v23, 0xb3a8, v68
	v_mul_f16_e32 v24, 0xb3a8, v67
	v_fma_f16 v22, v65, s15, -v23
	v_fma_f16 v25, v66, s15, v24
	v_fma_f16 v23, v65, s15, v23
	v_add_f16_e32 v41, v25, v46
	v_add_f16_e32 v46, v23, v28
	v_fma_f16 v23, v66, s15, -v24
	v_mul_f16_e32 v24, 0x3770, v68
	v_mul_f16_e32 v25, 0x3770, v67
	v_add_f16_e32 v44, v23, v32
	v_fma_f16 v23, v65, s2, -v24
	v_fma_f16 v26, v66, s2, v25
	v_fma_f16 v24, v65, s2, v24
	v_add_f16_e32 v23, v23, v42
	v_add_f16_e32 v42, v26, v47
	;; [unrolled: 1-line block ×3, first 2 shown]
	v_fma_f16 v24, v66, s2, -v25
	v_mul_f16_e32 v25, 0xb94e, v68
	v_mul_f16_e32 v26, 0xb94e, v67
	v_add_f16_e32 v47, v24, v34
	v_fma_f16 v24, v65, s14, -v25
	v_fma_f16 v27, v66, s14, v26
	v_fma_f16 v25, v65, s14, v25
	v_add_f16_e32 v22, v22, v31
	v_add_f16_e32 v43, v27, v50
	;; [unrolled: 1-line block ×3, first 2 shown]
	v_fma_f16 v25, v66, s14, -v26
	v_mul_f16_e32 v26, 0x3a95, v68
	v_mul_f16_e32 v29, 0x3a95, v67
	;; [unrolled: 1-line block ×3, first 2 shown]
	v_add_f16_e32 v49, v25, v52
	v_fma_f16 v25, v65, s4, -v26
	v_fma_f16 v30, v66, s4, v29
	v_fma_f16 v26, v65, s4, v26
	;; [unrolled: 1-line block ×3, first 2 shown]
	v_add_f16_e32 v24, v24, v45
	v_add_f16_e32 v45, v30, v55
	;; [unrolled: 1-line block ×3, first 2 shown]
	v_fma_f16 v26, v66, s4, -v29
	v_mul_f16_e32 v29, 0xbb7b, v68
	v_add_f16_e32 v48, v32, v59
	v_fma_f16 v31, v66, s5, -v31
	v_mul_f16_e32 v32, 0x3bf1, v68
	v_mul_f16_e32 v33, 0x3bf1, v67
	v_add_f16_e32 v51, v26, v56
	v_fma_f16 v26, v65, s5, -v29
	v_fma_f16 v29, v65, s5, v29
	v_add_f16_e32 v52, v31, v60
	v_fma_f16 v31, v65, s3, -v32
	v_fma_f16 v34, v66, s3, v33
	v_fma_f16 v32, v65, s3, v32
	v_fma_f16 v33, v66, s3, -v33
	v_add_f16_e32 v25, v25, v54
	v_add_f16_e32 v26, v26, v58
	;; [unrolled: 1-line block ×7, first 2 shown]
	s_and_saveexec_b64 s[2:3], s[0:1]
	s_cbranch_execz .LBB0_11
; %bb.10:
	s_mov_b32 s4, 0x5040100
	v_perm_b32 v33, v40, v21, s4
	v_perm_b32 v34, v41, v22, s4
	ds_write2_b32 v35, v33, v34 offset1:130
	v_perm_b32 v33, v42, v23, s4
	v_perm_b32 v34, v43, v24, s4
	v_add_u32_e32 v54, 0x400, v35
	ds_write2_b32 v54, v33, v34 offset0:4 offset1:134
	v_perm_b32 v33, v45, v25, s4
	v_perm_b32 v34, v48, v26, s4
	v_add_u32_e32 v54, 0x800, v35
	ds_write2_b32 v54, v33, v34 offset0:8 offset1:138
	;; [unrolled: 4-line block ×5, first 2 shown]
	v_perm_b32 v33, v44, v46, s4
	ds_write_b32 v35, v33 offset:6240
.LBB0_11:
	s_or_b64 exec, exec, s[2:3]
	s_waitcnt lgkmcnt(0)
	s_barrier
	s_and_saveexec_b64 s[2:3], s[0:1]
	s_cbranch_execz .LBB0_13
; %bb.12:
	v_mov_b32_e32 v33, s7
	v_add_co_u32_e32 v56, vcc, s6, v35
	v_addc_co_u32_e32 v57, vcc, 0, v33, vcc
	v_add_co_u32_e32 v33, vcc, 0x1a68, v56
	v_addc_co_u32_e32 v34, vcc, 0, v57, vcc
	v_add_co_u32_e32 v54, vcc, 0x1000, v56
	v_addc_co_u32_e32 v55, vcc, 0, v57, vcc
	global_load_dword v58, v[54:55], off offset:2664
	global_load_dword v60, v[33:34], off offset:520
	;; [unrolled: 1-line block ×8, first 2 shown]
	s_movk_i32 s4, 0x2000
	v_add_co_u32_e32 v33, vcc, s4, v56
	v_addc_co_u32_e32 v34, vcc, 0, v57, vcc
	global_load_dword v67, v[33:34], off offset:2728
	global_load_dword v68, v[33:34], off offset:3248
	global_load_dword v73, v[33:34], off offset:3768
	s_movk_i32 s4, 0x3000
	v_add_co_u32_e32 v33, vcc, s4, v56
	v_addc_co_u32_e32 v34, vcc, 0, v57, vcc
	global_load_dword v74, v[33:34], off offset:192
	global_load_dword v75, v[33:34], off offset:712
	ds_read_b32 v54, v35
	v_add_u32_e32 v69, 0x200, v35
	v_add_u32_e32 v70, 0x600, v35
	;; [unrolled: 1-line block ×4, first 2 shown]
	s_waitcnt lgkmcnt(0)
	v_lshrrev_b32_e32 v55, 16, v54
	s_waitcnt vmcnt(12)
	v_mul_f16_sdwa v56, v55, v58 dst_sel:DWORD dst_unused:UNUSED_PAD src0_sel:DWORD src1_sel:WORD_1
	v_mul_f16_sdwa v57, v54, v58 dst_sel:DWORD dst_unused:UNUSED_PAD src0_sel:DWORD src1_sel:WORD_1
	v_fma_f16 v54, v54, v58, -v56
	v_fma_f16 v55, v55, v58, v57
	v_pack_b32_f16 v54, v54, v55
	ds_write_b32 v35, v54
	ds_read2_b32 v[54:55], v69 offset0:2 offset1:132
	ds_read2_b32 v[33:34], v70 offset0:6 offset1:136
	;; [unrolled: 1-line block ×4, first 2 shown]
	s_waitcnt lgkmcnt(2)
	v_lshrrev_b32_e32 v80, 16, v33
	v_lshrrev_b32_e32 v76, 16, v54
	s_waitcnt vmcnt(11)
	v_mul_f16_sdwa v77, v54, v60 dst_sel:DWORD dst_unused:UNUSED_PAD src0_sel:DWORD src1_sel:WORD_1
	v_lshrrev_b32_e32 v78, 16, v55
	s_waitcnt vmcnt(10)
	v_mul_f16_sdwa v79, v55, v61 dst_sel:DWORD dst_unused:UNUSED_PAD src0_sel:DWORD src1_sel:WORD_1
	s_waitcnt vmcnt(9)
	v_mul_f16_sdwa v81, v33, v62 dst_sel:DWORD dst_unused:UNUSED_PAD src0_sel:DWORD src1_sel:WORD_1
	v_lshrrev_b32_e32 v82, 16, v34
	s_waitcnt vmcnt(8)
	v_mul_f16_sdwa v83, v34, v63 dst_sel:DWORD dst_unused:UNUSED_PAD src0_sel:DWORD src1_sel:WORD_1
	s_waitcnt lgkmcnt(1)
	v_lshrrev_b32_e32 v84, 16, v56
	s_waitcnt vmcnt(7)
	v_mul_f16_sdwa v85, v56, v64 dst_sel:DWORD dst_unused:UNUSED_PAD src0_sel:DWORD src1_sel:WORD_1
	v_lshrrev_b32_e32 v86, 16, v57
	v_mul_f16_sdwa v90, v76, v60 dst_sel:DWORD dst_unused:UNUSED_PAD src0_sel:DWORD src1_sel:WORD_1
	v_fma_f16 v76, v76, v60, v77
	v_mul_f16_sdwa v77, v78, v61 dst_sel:DWORD dst_unused:UNUSED_PAD src0_sel:DWORD src1_sel:WORD_1
	s_waitcnt vmcnt(6)
	v_mul_f16_sdwa v87, v57, v65 dst_sel:DWORD dst_unused:UNUSED_PAD src0_sel:DWORD src1_sel:WORD_1
	v_fma_f16 v78, v78, v61, v79
	v_mul_f16_sdwa v79, v80, v62 dst_sel:DWORD dst_unused:UNUSED_PAD src0_sel:DWORD src1_sel:WORD_1
	v_fma_f16 v80, v80, v62, v81
	;; [unrolled: 2-line block ×4, first 2 shown]
	v_mul_f16_sdwa v85, v86, v65 dst_sel:DWORD dst_unused:UNUSED_PAD src0_sel:DWORD src1_sel:WORD_1
	v_fma_f16 v54, v54, v60, -v90
	v_fma_f16 v55, v55, v61, -v77
	v_fma_f16 v86, v86, v65, v87
	v_fma_f16 v33, v33, v62, -v79
	v_fma_f16 v34, v34, v63, -v81
	;; [unrolled: 1-line block ×4, first 2 shown]
	v_pack_b32_f16 v54, v54, v76
	v_pack_b32_f16 v55, v55, v78
	v_pack_b32_f16 v33, v33, v80
	v_pack_b32_f16 v34, v34, v82
	v_pack_b32_f16 v56, v56, v84
	v_pack_b32_f16 v57, v57, v86
	ds_write2_b32 v69, v54, v55 offset0:2 offset1:132
	ds_write2_b32 v70, v33, v34 offset0:6 offset1:136
	;; [unrolled: 1-line block ×3, first 2 shown]
	s_waitcnt lgkmcnt(3)
	v_lshrrev_b32_e32 v55, 16, v59
	v_lshrrev_b32_e32 v88, 16, v58
	s_waitcnt vmcnt(4)
	v_mul_f16_sdwa v33, v55, v67 dst_sel:DWORD dst_unused:UNUSED_PAD src0_sel:DWORD src1_sel:WORD_1
	v_add_u32_e32 v57, 0x1200, v35
	v_mul_f16_sdwa v89, v58, v66 dst_sel:DWORD dst_unused:UNUSED_PAD src0_sel:DWORD src1_sel:WORD_1
	v_mul_f16_sdwa v87, v88, v66 dst_sel:DWORD dst_unused:UNUSED_PAD src0_sel:DWORD src1_sel:WORD_1
	v_fma_f16 v56, v59, v67, -v33
	ds_read2_b32 v[33:34], v57 offset0:18 offset1:148
	v_fma_f16 v88, v88, v66, v89
	v_fma_f16 v58, v58, v66, -v87
	v_pack_b32_f16 v54, v58, v88
	v_mul_f16_sdwa v58, v59, v67 dst_sel:DWORD dst_unused:UNUSED_PAD src0_sel:DWORD src1_sel:WORD_1
	v_fma_f16 v55, v55, v67, v58
	v_pack_b32_f16 v55, v56, v55
	ds_write2_b32 v72, v54, v55 offset0:14 offset1:144
	s_waitcnt lgkmcnt(1)
	v_lshrrev_b32_e32 v54, 16, v33
	s_waitcnt vmcnt(3)
	v_mul_f16_sdwa v55, v54, v68 dst_sel:DWORD dst_unused:UNUSED_PAD src0_sel:DWORD src1_sel:WORD_1
	v_fma_f16 v55, v33, v68, -v55
	v_mul_f16_sdwa v33, v33, v68 dst_sel:DWORD dst_unused:UNUSED_PAD src0_sel:DWORD src1_sel:WORD_1
	v_lshrrev_b32_e32 v56, 16, v34
	v_fma_f16 v33, v54, v68, v33
	s_waitcnt vmcnt(2)
	v_mul_f16_sdwa v54, v56, v73 dst_sel:DWORD dst_unused:UNUSED_PAD src0_sel:DWORD src1_sel:WORD_1
	v_add_u32_e32 v59, 0x1600, v35
	v_pack_b32_f16 v33, v55, v33
	v_fma_f16 v58, v34, v73, -v54
	ds_read2_b32 v[54:55], v59 offset0:22 offset1:152
	v_mul_f16_sdwa v34, v34, v73 dst_sel:DWORD dst_unused:UNUSED_PAD src0_sel:DWORD src1_sel:WORD_1
	v_fma_f16 v34, v56, v73, v34
	v_pack_b32_f16 v34, v58, v34
	ds_write2_b32 v57, v33, v34 offset0:18 offset1:148
	s_waitcnt lgkmcnt(1)
	v_lshrrev_b32_e32 v33, 16, v54
	s_waitcnt vmcnt(1)
	v_mul_f16_sdwa v34, v33, v74 dst_sel:DWORD dst_unused:UNUSED_PAD src0_sel:DWORD src1_sel:WORD_1
	v_fma_f16 v34, v54, v74, -v34
	v_mul_f16_sdwa v54, v54, v74 dst_sel:DWORD dst_unused:UNUSED_PAD src0_sel:DWORD src1_sel:WORD_1
	v_fma_f16 v33, v33, v74, v54
	v_pack_b32_f16 v33, v34, v33
	v_lshrrev_b32_e32 v34, 16, v55
	s_waitcnt vmcnt(0)
	v_mul_f16_sdwa v54, v34, v75 dst_sel:DWORD dst_unused:UNUSED_PAD src0_sel:DWORD src1_sel:WORD_1
	v_fma_f16 v54, v55, v75, -v54
	v_mul_f16_sdwa v55, v55, v75 dst_sel:DWORD dst_unused:UNUSED_PAD src0_sel:DWORD src1_sel:WORD_1
	v_fma_f16 v34, v34, v75, v55
	v_pack_b32_f16 v34, v54, v34
	ds_write2_b32 v59, v33, v34 offset0:22 offset1:152
.LBB0_13:
	s_or_b64 exec, exec, s[2:3]
	s_waitcnt lgkmcnt(0)
	s_barrier
	s_and_saveexec_b64 s[2:3], s[0:1]
	s_cbranch_execz .LBB0_15
; %bb.14:
	v_add_u32_e32 v27, 0xc00, v35
	ds_read2_b32 v[31:32], v27 offset0:12 offset1:142
	v_add_u32_e32 v27, 0x1000, v35
	v_add_u32_e32 v23, 0x400, v35
	;; [unrolled: 1-line block ×3, first 2 shown]
	ds_read2_b32 v[29:30], v27 offset0:16 offset1:146
	v_add_u32_e32 v27, 0x1400, v35
	ds_read2_b32 v[21:22], v35 offset1:130
	ds_read2_b32 v[23:24], v23 offset0:4 offset1:134
	ds_read2_b32 v[25:26], v25 offset0:8 offset1:138
	;; [unrolled: 1-line block ×3, first 2 shown]
	ds_read_b32 v46, v35 offset:6240
	s_waitcnt lgkmcnt(4)
	v_lshrrev_b32_e32 v40, 16, v21
	v_lshrrev_b32_e32 v41, 16, v22
	s_waitcnt lgkmcnt(3)
	v_lshrrev_b32_e32 v42, 16, v23
	v_lshrrev_b32_e32 v43, 16, v24
	;; [unrolled: 3-line block ×3, first 2 shown]
	v_lshrrev_b32_e32 v50, 16, v31
	v_lshrrev_b32_e32 v53, 16, v32
	;; [unrolled: 1-line block ×4, first 2 shown]
	s_waitcnt lgkmcnt(1)
	v_lshrrev_b32_e32 v49, 16, v27
	v_lshrrev_b32_e32 v47, 16, v28
	s_waitcnt lgkmcnt(0)
	v_lshrrev_b32_e32 v44, 16, v46
.LBB0_15:
	s_or_b64 exec, exec, s[2:3]
	v_sub_f16_e32 v93, v41, v44
	v_add_f16_e32 v58, v46, v22
	v_add_f16_e32 v96, v44, v41
	s_movk_i32 s4, 0x3b15
	v_mul_f16_e32 v67, 0xb770, v93
	v_sub_f16_e32 v100, v42, v47
	v_sub_f16_e32 v59, v22, v46
	s_mov_b32 s28, 0xb770
	v_mul_f16_e32 v69, 0x3b15, v96
	v_fma_f16 v33, v58, s4, -v67
	s_movk_i32 s5, 0x388b
	v_add_f16_e32 v60, v28, v23
	v_add_f16_e32 v103, v47, v42
	v_mul_f16_e32 v71, 0xba95, v100
	v_add_f16_e32 v33, v21, v33
	v_fma_f16 v34, v59, s28, v69
	s_mov_b32 s18, 0xba95
	v_mul_f16_e32 v74, 0xba95, v93
	v_sub_f16_e32 v61, v23, v28
	v_mul_f16_e32 v73, 0x388b, v103
	v_fma_f16 v62, v60, s5, -v71
	v_add_f16_e32 v34, v40, v34
	v_mul_f16_e32 v79, 0x388b, v96
	v_fma_f16 v54, v58, s5, -v74
	v_add_f16_e32 v33, v62, v33
	v_fma_f16 v62, v61, s18, v73
	s_mov_b32 s16, 0xb5ac
	v_mul_f16_e32 v77, 0xbb7b, v100
	v_add_f16_e32 v54, v21, v54
	v_fma_f16 v55, v59, s18, v79
	s_movk_i32 s14, 0x2fb7
	v_mul_f16_e32 v86, 0xbbf1, v93
	v_add_f16_e32 v34, v62, v34
	s_mov_b32 s19, 0xbb7b
	v_mul_f16_e32 v83, 0xb5ac, v103
	v_fma_f16 v62, v60, s16, -v77
	v_add_f16_e32 v55, v40, v55
	s_mov_b32 s15, 0xbbf1
	v_mul_f16_e32 v94, 0x2fb7, v96
	v_fma_f16 v56, v58, s14, -v86
	v_add_f16_e32 v54, v62, v54
	v_fma_f16 v62, v61, s19, v83
	s_mov_b32 s17, 0xbbc4
	v_mul_f16_e32 v91, 0xb3a8, v100
	v_add_f16_e32 v56, v21, v56
	v_fma_f16 v57, v59, s15, v94
	v_add_f16_e32 v55, v62, v55
	s_mov_b32 s23, 0xb3a8
	v_mul_f16_e32 v99, 0xbbc4, v103
	v_fma_f16 v62, v60, s17, -v91
	v_add_f16_e32 v57, v40, v57
	v_add_f16_e32 v56, v62, v56
	v_fma_f16 v62, v61, s23, v99
	v_sub_f16_e32 v105, v43, v49
	v_add_f16_e32 v57, v62, v57
	v_add_f16_e32 v62, v27, v24
	;; [unrolled: 1-line block ×3, first 2 shown]
	v_mul_f16_e32 v75, 0xbbf1, v105
	v_sub_f16_e32 v63, v24, v27
	v_mul_f16_e32 v76, 0x2fb7, v108
	v_fma_f16 v64, v62, s14, -v75
	v_add_f16_e32 v33, v64, v33
	v_fma_f16 v64, v63, s15, v76
	v_mul_f16_e32 v81, 0xb3a8, v105
	v_add_f16_e32 v34, v64, v34
	v_mul_f16_e32 v88, 0xbbc4, v108
	v_fma_f16 v64, v62, s17, -v81
	v_add_f16_e32 v54, v64, v54
	v_fma_f16 v64, v63, s23, v88
	v_mul_f16_e32 v97, 0x3b7b, v105
	v_add_f16_e32 v55, v64, v55
	s_movk_i32 s29, 0x3b7b
	v_mul_f16_e32 v104, 0xb5ac, v108
	v_fma_f16 v64, v62, s16, -v97
	v_add_f16_e32 v56, v64, v56
	v_fma_f16 v64, v63, s29, v104
	v_sub_f16_e32 v109, v45, v51
	v_add_f16_e32 v57, v64, v57
	v_add_f16_e32 v64, v30, v25
	;; [unrolled: 1-line block ×3, first 2 shown]
	v_mul_f16_e32 v78, 0xbb7b, v109
	v_sub_f16_e32 v65, v25, v30
	v_mul_f16_e32 v80, 0xb5ac, v112
	v_fma_f16 v66, v64, s16, -v78
	v_add_f16_e32 v33, v66, v33
	v_fma_f16 v66, v65, s19, v80
	v_mul_f16_e32 v84, 0x394e, v109
	v_add_f16_e32 v34, v66, v34
	s_movk_i32 s21, 0x394e
	v_mul_f16_e32 v92, 0xb9fd, v112
	v_fma_f16 v66, v64, s20, -v84
	v_add_f16_e32 v54, v66, v54
	v_fma_f16 v66, v65, s21, v92
	v_mul_f16_e32 v102, 0x3770, v109
	v_add_f16_e32 v55, v66, v55
	s_movk_i32 s22, 0x3770
	v_mul_f16_e32 v107, 0x3b15, v112
	v_fma_f16 v66, v64, s4, -v102
	v_add_f16_e32 v56, v66, v56
	v_fma_f16 v66, v65, s22, v107
	v_sub_f16_e32 v113, v48, v52
	v_add_f16_e32 v57, v66, v57
	v_add_f16_e32 v66, v29, v26
	;; [unrolled: 1-line block ×3, first 2 shown]
	v_mul_f16_e32 v82, 0xb94e, v113
	v_sub_f16_e32 v68, v26, v29
	s_mov_b32 s24, 0xb94e
	v_mul_f16_e32 v85, 0xb9fd, v115
	v_fma_f16 v70, v66, s20, -v82
	v_add_f16_e32 v33, v70, v33
	v_fma_f16 v70, v68, s24, v85
	v_mul_f16_e32 v89, 0x3bf1, v113
	v_add_f16_e32 v34, v70, v34
	s_movk_i32 s25, 0x3bf1
	v_mul_f16_e32 v98, 0x2fb7, v115
	v_fma_f16 v70, v66, s14, -v89
	v_add_f16_e32 v54, v70, v54
	v_fma_f16 v70, v68, s25, v98
	v_mul_f16_e32 v106, 0xba95, v113
	v_add_f16_e32 v55, v70, v55
	v_mul_f16_e32 v111, 0x388b, v115
	v_fma_f16 v70, v66, s5, -v106
	v_sub_f16_e32 v116, v50, v53
	v_add_f16_e32 v118, v70, v56
	v_fma_f16 v56, v68, s18, v111
	v_add_f16_e32 v70, v32, v31
	v_add_f16_e32 v117, v53, v50
	v_mul_f16_e32 v87, 0xb3a8, v116
	v_add_f16_e32 v119, v56, v57
	v_sub_f16_e32 v72, v31, v32
	v_mul_f16_e32 v90, 0xbbc4, v117
	v_fma_f16 v56, v70, s17, -v87
	v_add_f16_e32 v56, v56, v33
	v_fma_f16 v33, v72, s23, v90
	v_mul_f16_e32 v95, 0x3770, v116
	v_add_f16_e32 v57, v33, v34
	v_mul_f16_e32 v101, 0x3b15, v117
	v_fma_f16 v33, v70, s4, -v95
	v_add_f16_e32 v34, v33, v54
	v_fma_f16 v33, v72, s22, v101
	v_mul_f16_e32 v110, 0xb94e, v116
	v_mul_f16_e32 v114, 0xb9fd, v117
	v_add_f16_e32 v55, v33, v55
	v_fma_f16 v33, v70, s20, -v110
	v_fma_f16 v54, v72, s24, v114
	v_add_f16_e32 v33, v33, v118
	v_add_f16_e32 v54, v54, v119
	s_barrier
	s_and_saveexec_b64 s[2:3], s[0:1]
	s_cbranch_execz .LBB0_17
; %bb.16:
	v_mul_f16_e32 v118, 0xbbc4, v96
	s_movk_i32 s26, 0x33a8
	v_fma_f16 v119, v59, s26, v118
	v_mul_f16_e32 v120, 0x3b15, v103
	v_add_f16_e32 v119, v40, v119
	v_fma_f16 v121, v61, s28, v120
	v_add_f16_e32 v119, v121, v119
	v_mul_f16_e32 v121, 0xb9fd, v108
	v_fma_f16 v122, v63, s21, v121
	v_add_f16_e32 v119, v122, v119
	v_mul_f16_e32 v122, 0x388b, v112
	;; [unrolled: 3-line block ×5, first 2 shown]
	v_fma_f16 v126, v58, s17, v125
	v_mul_f16_e32 v127, 0x3770, v100
	v_add_f16_e32 v126, v21, v126
	v_fma_f16 v128, v60, s4, v127
	v_add_f16_e32 v126, v128, v126
	v_mul_f16_e32 v128, 0xb94e, v105
	v_fma_f16 v129, v62, s20, v128
	v_add_f16_e32 v126, v129, v126
	v_mul_f16_e32 v129, 0x3a95, v109
	;; [unrolled: 3-line block ×5, first 2 shown]
	v_fma_f16 v133, v59, s21, v132
	v_mul_f16_e32 v134, 0x2fb7, v103
	v_add_f16_e32 v133, v40, v133
	v_fma_f16 v135, v61, s15, v134
	s_movk_i32 s27, 0x3a95
	v_add_f16_e32 v133, v135, v133
	v_mul_f16_e32 v135, 0x388b, v108
	v_fma_f16 v136, v63, s27, v135
	v_add_f16_e32 v133, v136, v133
	v_mul_f16_e32 v136, 0xbbc4, v112
	v_fma_f16 v137, v65, s23, v136
	;; [unrolled: 3-line block ×5, first 2 shown]
	v_mul_f16_e32 v141, 0x3bf1, v100
	v_add_f16_e32 v140, v21, v140
	v_fma_f16 v142, v60, s14, v141
	v_add_f16_e32 v140, v142, v140
	v_mul_f16_e32 v142, 0xba95, v105
	v_fma_f16 v143, v62, s5, v142
	v_add_f16_e32 v140, v143, v140
	v_mul_f16_e32 v143, 0x33a8, v109
	;; [unrolled: 3-line block ×4, first 2 shown]
	v_fma_f16 v146, v70, s16, v145
	v_mul_f16_e32 v96, 0xb5ac, v96
	v_add_f16_e32 v140, v146, v140
	v_fma_f16 v146, v59, s29, v96
	v_mul_f16_e32 v103, 0xb9fd, v103
	v_add_f16_e32 v146, v40, v146
	;; [unrolled: 3-line block ×12, first 2 shown]
	v_fma_f16 v148, v70, s5, v116
	v_add_f16_e32 v147, v148, v147
	v_mul_f16_e32 v148, 0xbbf1, v59
	v_sub_f16_e32 v94, v94, v148
	v_mul_f16_e32 v148, 0xb3a8, v61
	v_add_f16_e32 v22, v22, v21
	v_sub_f16_e32 v99, v99, v148
	v_add_f16_e32 v94, v40, v94
	v_add_f16_e32 v22, v23, v22
	;; [unrolled: 1-line block ×3, first 2 shown]
	v_mul_f16_e32 v99, 0x3b7b, v63
	v_add_f16_e32 v22, v24, v22
	v_fma_f16 v24, v59, s23, v118
	v_sub_f16_e32 v99, v104, v99
	v_add_f16_e32 v22, v25, v22
	v_add_f16_e32 v24, v40, v24
	v_fma_f16 v25, v61, s22, v120
	v_add_f16_e32 v94, v99, v94
	v_mul_f16_e32 v99, 0x3770, v65
	v_add_f16_e32 v24, v25, v24
	v_fma_f16 v25, v63, s24, v121
	v_sub_f16_e32 v99, v107, v99
	v_add_f16_e32 v24, v25, v24
	v_fma_f16 v25, v65, s27, v122
	v_add_f16_e32 v94, v99, v94
	v_mul_f16_e32 v99, 0xba95, v68
	v_add_f16_e32 v24, v25, v24
	v_fma_f16 v25, v68, s19, v123
	v_sub_f16_e32 v99, v111, v99
	v_add_f16_e32 v24, v25, v24
	v_fma_f16 v25, v72, s25, v124
	v_add_f16_e32 v94, v99, v94
	v_mul_f16_e32 v99, 0xb94e, v72
	v_add_f16_e32 v24, v25, v24
	v_fma_f16 v25, v58, s17, -v125
	v_sub_f16_e32 v99, v114, v99
	v_add_f16_e32 v22, v26, v22
	v_add_f16_e32 v25, v21, v25
	v_fma_f16 v26, v60, s4, -v127
	v_add_f16_e32 v94, v99, v94
	v_mul_f16_e32 v99, 0x2fb7, v58
	v_add_f16_e32 v25, v26, v25
	v_fma_f16 v26, v62, s20, -v128
	v_add_f16_e32 v86, v99, v86
	v_mul_f16_e32 v99, 0xbbc4, v60
	v_add_f16_e32 v22, v31, v22
	v_add_f16_e32 v25, v26, v25
	v_fma_f16 v26, v64, s5, -v129
	v_add_f16_e32 v91, v99, v91
	v_add_f16_e32 v86, v21, v86
	;; [unrolled: 1-line block ×4, first 2 shown]
	v_fma_f16 v26, v66, s16, -v130
	v_add_f16_e32 v86, v91, v86
	v_mul_f16_e32 v91, 0xb5ac, v62
	v_add_f16_e32 v22, v29, v22
	v_add_f16_e32 v25, v26, v25
	v_fma_f16 v26, v70, s14, -v131
	v_add_f16_e32 v91, v91, v97
	v_add_f16_e32 v22, v30, v22
	;; [unrolled: 1-line block ×3, first 2 shown]
	v_fma_f16 v26, v59, s24, v132
	v_add_f16_e32 v86, v91, v86
	v_mul_f16_e32 v91, 0x3b15, v64
	v_add_f16_e32 v22, v27, v22
	v_add_f16_e32 v26, v40, v26
	v_fma_f16 v27, v61, s25, v134
	v_add_f16_e32 v91, v91, v102
	v_add_f16_e32 v26, v27, v26
	v_fma_f16 v27, v63, s18, v135
	v_add_f16_e32 v86, v91, v86
	v_mul_f16_e32 v91, 0x388b, v66
	v_add_f16_e32 v26, v27, v26
	v_fma_f16 v27, v65, s26, v136
	v_add_f16_e32 v91, v91, v106
	v_add_f16_e32 v26, v27, v26
	v_fma_f16 v27, v68, s22, v137
	v_add_f16_e32 v86, v91, v86
	v_mul_f16_e32 v91, 0xb9fd, v70
	v_add_f16_e32 v26, v27, v26
	v_fma_f16 v27, v72, s19, v138
	v_add_f16_e32 v91, v91, v110
	v_add_f16_e32 v26, v27, v26
	v_fma_f16 v27, v58, s20, -v139
	v_add_f16_e32 v86, v91, v86
	v_mul_f16_e32 v91, 0xba95, v59
	v_add_f16_e32 v22, v28, v22
	v_add_f16_e32 v27, v21, v27
	v_fma_f16 v28, v60, s14, -v141
	v_sub_f16_e32 v79, v79, v91
	v_mul_f16_e32 v91, 0xbb7b, v61
	v_add_f16_e32 v27, v28, v27
	v_fma_f16 v28, v62, s5, -v142
	v_sub_f16_e32 v83, v83, v91
	v_add_f16_e32 v79, v40, v79
	v_add_f16_e32 v27, v28, v27
	v_fma_f16 v28, v64, s17, -v143
	v_add_f16_e32 v79, v83, v79
	v_mul_f16_e32 v83, 0xb3a8, v63
	v_add_f16_e32 v27, v28, v27
	v_fma_f16 v28, v66, s4, -v144
	v_sub_f16_e32 v83, v88, v83
	v_add_f16_e32 v27, v28, v27
	v_fma_f16 v28, v70, s16, -v145
	v_add_f16_e32 v79, v83, v79
	v_mul_f16_e32 v83, 0x394e, v65
	v_add_f16_e32 v23, v41, v40
	v_add_f16_e32 v27, v28, v27
	v_fma_f16 v28, v59, s19, v96
	v_sub_f16_e32 v83, v92, v83
	v_add_f16_e32 v23, v42, v23
	v_add_f16_e32 v28, v40, v28
	v_fma_f16 v29, v61, s21, v103
	v_add_f16_e32 v79, v83, v79
	v_mul_f16_e32 v83, 0x3bf1, v68
	v_add_f16_e32 v23, v43, v23
	v_add_f16_e32 v28, v29, v28
	v_fma_f16 v29, v63, s22, v108
	v_sub_f16_e32 v83, v98, v83
	v_add_f16_e32 v23, v45, v23
	v_add_f16_e32 v28, v29, v28
	v_fma_f16 v29, v65, s15, v112
	v_mul_f16_e32 v97, 0x3b15, v58
	v_mul_f16_e32 v99, 0xb770, v59
	;; [unrolled: 1-line block ×3, first 2 shown]
	v_add_f16_e32 v79, v83, v79
	v_mul_f16_e32 v83, 0x3770, v72
	v_add_f16_e32 v23, v48, v23
	v_add_f16_e32 v28, v29, v28
	v_fma_f16 v29, v68, s26, v115
	v_mul_f16_e32 v91, 0x388b, v60
	v_mul_f16_e32 v88, 0xba95, v61
	;; [unrolled: 1-line block ×3, first 2 shown]
	v_sub_f16_e32 v83, v101, v83
	v_add_f16_e32 v74, v102, v74
	v_sub_f16_e32 v69, v69, v99
	v_add_f16_e32 v67, v97, v67
	v_add_f16_e32 v23, v50, v23
	;; [unrolled: 1-line block ×3, first 2 shown]
	v_fma_f16 v29, v72, s27, v117
	v_mul_f16_e32 v98, 0x2fb7, v62
	v_mul_f16_e32 v101, 0xbbf1, v63
	v_add_f16_e32 v79, v83, v79
	v_mul_f16_e32 v83, 0xbbc4, v62
	v_add_f16_e32 v77, v92, v77
	v_add_f16_e32 v74, v21, v74
	;; [unrolled: 1-line block ×3, first 2 shown]
	v_sub_f16_e32 v73, v73, v88
	v_add_f16_e32 v67, v21, v67
	v_add_f16_e32 v71, v91, v71
	;; [unrolled: 1-line block ×4, first 2 shown]
	v_fma_f16 v29, v58, s16, -v93
	v_mul_f16_e32 v102, 0xb5ac, v64
	v_mul_f16_e32 v92, 0xbb7b, v65
	v_add_f16_e32 v74, v77, v74
	v_mul_f16_e32 v77, 0xb9fd, v64
	v_add_f16_e32 v81, v83, v81
	v_add_f16_e32 v69, v73, v69
	v_sub_f16_e32 v73, v76, v101
	v_add_f16_e32 v67, v71, v67
	v_add_f16_e32 v71, v98, v75
	;; [unrolled: 1-line block ×4, first 2 shown]
	v_fma_f16 v29, v60, s20, -v100
	v_mul_f16_e32 v83, 0xb9fd, v66
	v_add_f16_e32 v74, v81, v74
	v_mul_f16_e32 v81, 0xb94e, v68
	v_add_f16_e32 v77, v77, v84
	;; [unrolled: 2-line block ×3, first 2 shown]
	v_sub_f16_e32 v73, v80, v92
	v_add_f16_e32 v67, v71, v67
	v_add_f16_e32 v71, v102, v78
	;; [unrolled: 1-line block ×4, first 2 shown]
	v_fma_f16 v29, v62, s4, -v105
	v_add_f16_e32 v74, v77, v74
	v_mul_f16_e32 v77, 0xbbc4, v70
	v_add_f16_e32 v84, v84, v89
	v_mul_f16_e32 v89, 0xb3a8, v72
	v_add_f16_e32 v69, v73, v69
	v_sub_f16_e32 v73, v85, v81
	v_add_f16_e32 v67, v71, v67
	v_add_f16_e32 v71, v83, v82
	;; [unrolled: 1-line block ×4, first 2 shown]
	v_fma_f16 v29, v64, s14, -v109
	v_add_f16_e32 v74, v84, v74
	v_mul_f16_e32 v84, 0x3b15, v70
	v_add_f16_e32 v69, v73, v69
	v_sub_f16_e32 v73, v90, v89
	v_add_f16_e32 v67, v71, v67
	v_add_f16_e32 v71, v77, v87
	;; [unrolled: 1-line block ×4, first 2 shown]
	v_fma_f16 v29, v66, s17, -v113
	v_add_f16_e32 v84, v84, v95
	v_add_f16_e32 v69, v73, v69
	;; [unrolled: 1-line block ×6, first 2 shown]
	v_fma_f16 v29, v70, s5, -v116
	v_add_f16_e32 v74, v84, v74
	v_add_f16_e32 v21, v29, v21
	v_lshlrev_b32_e32 v29, 2, v37
	v_pack_b32_f16 v30, v67, v69
	v_pack_b32_f16 v22, v22, v23
	ds_write2_b32 v29, v22, v30 offset1:1
	v_pack_b32_f16 v22, v86, v94
	v_pack_b32_f16 v23, v74, v79
	ds_write2_b32 v29, v23, v22 offset0:2 offset1:3
	v_pack_b32_f16 v22, v140, v133
	v_pack_b32_f16 v23, v147, v146
	ds_write2_b32 v29, v23, v22 offset0:4 offset1:5
	;; [unrolled: 3-line block ×3, first 2 shown]
	v_pack_b32_f16 v21, v21, v28
	v_pack_b32_f16 v22, v27, v26
	s_mov_b32 s4, 0x5040100
	ds_write2_b32 v29, v22, v21 offset0:8 offset1:9
	v_perm_b32 v21, v55, v34, s4
	v_perm_b32 v22, v54, v33, s4
	ds_write2_b32 v29, v22, v21 offset0:10 offset1:11
	v_perm_b32 v21, v57, v56, s4
	ds_write_b32 v29, v21 offset:48
.LBB0_17:
	s_or_b64 exec, exec, s[2:3]
	s_waitcnt lgkmcnt(0)
	s_barrier
	ds_read2_b32 v[21:22], v35 offset1:169
	v_add_u32_e32 v25, 0x400, v35
	ds_read2_b32 v[26:27], v25 offset0:82 offset1:251
	v_add_u32_e32 v24, 0xa00, v35
	ds_read2_b32 v[28:29], v24 offset0:36 offset1:205
	s_waitcnt lgkmcnt(2)
	v_lshrrev_b32_e32 v32, 16, v22
	v_mul_f16_sdwa v49, v0, v32 dst_sel:DWORD dst_unused:UNUSED_PAD src0_sel:WORD_1 src1_sel:DWORD
	s_waitcnt lgkmcnt(1)
	v_lshrrev_b32_e32 v37, 16, v26
	v_fma_f16 v49, v0, v22, v49
	v_mul_f16_sdwa v22, v0, v22 dst_sel:DWORD dst_unused:UNUSED_PAD src0_sel:WORD_1 src1_sel:DWORD
	v_fma_f16 v0, v0, v32, -v22
	v_mul_f16_sdwa v22, v1, v37 dst_sel:DWORD dst_unused:UNUSED_PAD src0_sel:WORD_1 src1_sel:DWORD
	v_lshrrev_b32_e32 v42, 16, v27
	v_add_u32_e32 v24, 0xf00, v35
	v_fma_f16 v22, v1, v26, v22
	v_mul_f16_sdwa v26, v1, v26 dst_sel:DWORD dst_unused:UNUSED_PAD src0_sel:WORD_1 src1_sel:DWORD
	ds_read2_b32 v[30:31], v24 offset0:54 offset1:223
	v_fma_f16 v1, v1, v37, -v26
	v_mul_f16_sdwa v26, v2, v42 dst_sel:DWORD dst_unused:UNUSED_PAD src0_sel:WORD_1 src1_sel:DWORD
	s_waitcnt lgkmcnt(1)
	v_lshrrev_b32_e32 v43, 16, v28
	v_fma_f16 v26, v2, v27, v26
	v_mul_f16_sdwa v27, v2, v27 dst_sel:DWORD dst_unused:UNUSED_PAD src0_sel:WORD_1 src1_sel:DWORD
	v_fma_f16 v2, v2, v42, -v27
	v_mul_f16_sdwa v27, v3, v43 dst_sel:DWORD dst_unused:UNUSED_PAD src0_sel:WORD_1 src1_sel:DWORD
	v_add_u32_e32 v24, 0x1400, v35
	v_lshrrev_b32_e32 v44, 16, v29
	v_fma_f16 v27, v3, v28, v27
	v_mul_f16_sdwa v28, v3, v28 dst_sel:DWORD dst_unused:UNUSED_PAD src0_sel:WORD_1 src1_sel:DWORD
	ds_read2_b32 v[40:41], v24 offset0:72 offset1:241
	v_fma_f16 v3, v3, v43, -v28
	v_mul_f16_sdwa v28, v4, v44 dst_sel:DWORD dst_unused:UNUSED_PAD src0_sel:WORD_1 src1_sel:DWORD
	s_waitcnt lgkmcnt(1)
	v_lshrrev_b32_e32 v45, 16, v30
	v_fma_f16 v28, v4, v29, v28
	v_mul_f16_sdwa v29, v4, v29 dst_sel:DWORD dst_unused:UNUSED_PAD src0_sel:WORD_1 src1_sel:DWORD
	v_fma_f16 v4, v4, v44, -v29
	v_mul_f16_sdwa v29, v5, v45 dst_sel:DWORD dst_unused:UNUSED_PAD src0_sel:WORD_1 src1_sel:DWORD
	v_lshrrev_b32_e32 v46, 16, v31
	v_fma_f16 v29, v5, v30, v29
	v_mul_f16_sdwa v30, v5, v30 dst_sel:DWORD dst_unused:UNUSED_PAD src0_sel:WORD_1 src1_sel:DWORD
	v_fma_f16 v5, v5, v45, -v30
	v_mul_f16_sdwa v30, v6, v46 dst_sel:DWORD dst_unused:UNUSED_PAD src0_sel:WORD_1 src1_sel:DWORD
	s_waitcnt lgkmcnt(0)
	v_lshrrev_b32_e32 v47, 16, v40
	v_fma_f16 v30, v6, v31, v30
	v_mul_f16_sdwa v31, v6, v31 dst_sel:DWORD dst_unused:UNUSED_PAD src0_sel:WORD_1 src1_sel:DWORD
	v_lshrrev_b32_e32 v48, 16, v41
	v_fma_f16 v6, v6, v46, -v31
	v_mul_f16_sdwa v31, v7, v47 dst_sel:DWORD dst_unused:UNUSED_PAD src0_sel:WORD_1 src1_sel:DWORD
	v_mul_f16_sdwa v32, v7, v40 dst_sel:DWORD dst_unused:UNUSED_PAD src0_sel:WORD_1 src1_sel:DWORD
	v_fma_f16 v31, v7, v40, v31
	v_fma_f16 v7, v7, v47, -v32
	v_mul_f16_sdwa v32, v38, v48 dst_sel:DWORD dst_unused:UNUSED_PAD src0_sel:WORD_1 src1_sel:DWORD
	v_add_f16_e32 v40, v27, v29
	v_fma_f16 v32, v38, v41, v32
	v_mul_f16_sdwa v37, v38, v41 dst_sel:DWORD dst_unused:UNUSED_PAD src0_sel:WORD_1 src1_sel:DWORD
	v_fma_f16 v40, v40, -0.5, v21
	v_sub_f16_e32 v41, v1, v7
	s_mov_b32 s2, 0xbb9c
	s_movk_i32 s5, 0x3b9c
	v_fma_f16 v42, v41, s2, v40
	v_sub_f16_e32 v43, v3, v5
	s_mov_b32 s3, 0xb8b4
	v_sub_f16_e32 v44, v22, v27
	v_sub_f16_e32 v45, v31, v29
	v_fma_f16 v40, v41, s5, v40
	s_movk_i32 s14, 0x38b4
	v_fma_f16 v42, v43, s3, v42
	v_add_f16_e32 v44, v44, v45
	s_movk_i32 s4, 0x34f2
	v_fma_f16 v40, v43, s14, v40
	v_fma_f16 v42, v44, s4, v42
	;; [unrolled: 1-line block ×3, first 2 shown]
	v_add_f16_e32 v44, v22, v31
	v_lshrrev_b32_e32 v23, 16, v21
	v_fma_f16 v37, v38, v48, -v37
	v_add_f16_e32 v38, v21, v22
	v_fma_f16 v21, v44, -0.5, v21
	v_add_f16_e32 v38, v38, v27
	v_fma_f16 v44, v43, s5, v21
	v_fma_f16 v21, v43, s2, v21
	v_add_f16_e32 v43, v3, v5
	v_add_f16_e32 v38, v38, v29
	v_sub_f16_e32 v45, v27, v22
	v_sub_f16_e32 v46, v29, v31
	v_fma_f16 v43, v43, -0.5, v23
	v_sub_f16_e32 v22, v22, v31
	v_add_f16_e32 v38, v38, v31
	v_fma_f16 v44, v41, s3, v44
	v_add_f16_e32 v45, v45, v46
	v_fma_f16 v21, v41, s14, v21
	v_fma_f16 v31, v22, s5, v43
	v_sub_f16_e32 v27, v27, v29
	v_fma_f16 v44, v45, s4, v44
	v_fma_f16 v21, v45, s4, v21
	;; [unrolled: 1-line block ×3, first 2 shown]
	v_sub_f16_e32 v31, v1, v3
	v_sub_f16_e32 v45, v7, v5
	v_add_f16_e32 v31, v31, v45
	v_fma_f16 v45, v31, s4, v29
	v_fma_f16 v29, v22, s2, v43
	;; [unrolled: 1-line block ×3, first 2 shown]
	v_add_f16_e32 v41, v23, v1
	v_fma_f16 v43, v31, s4, v29
	v_add_f16_e32 v29, v1, v7
	v_add_f16_e32 v41, v41, v3
	v_fma_f16 v23, v29, -0.5, v23
	v_sub_f16_e32 v1, v3, v1
	v_sub_f16_e32 v3, v5, v7
	v_fma_f16 v29, v27, s2, v23
	v_add_f16_e32 v1, v1, v3
	v_fma_f16 v3, v27, s5, v23
	v_fma_f16 v29, v22, s14, v29
	;; [unrolled: 1-line block ×5, first 2 shown]
	v_add_f16_e32 v1, v49, v26
	v_add_f16_e32 v1, v1, v28
	;; [unrolled: 1-line block ×6, first 2 shown]
	v_fma_f16 v1, v1, -0.5, v49
	v_sub_f16_e32 v5, v2, v37
	v_add_f16_e32 v41, v41, v7
	v_fma_f16 v7, v5, s2, v1
	v_sub_f16_e32 v22, v4, v6
	v_sub_f16_e32 v23, v26, v28
	;; [unrolled: 1-line block ×3, first 2 shown]
	v_fma_f16 v1, v5, s5, v1
	v_add_f16_e32 v23, v23, v27
	v_fma_f16 v1, v22, s14, v1
	v_fma_f16 v29, v23, s4, v1
	v_add_f16_e32 v1, v26, v32
	v_fma_f16 v7, v22, s3, v7
	v_fma_f16 v1, v1, -0.5, v49
	v_fma_f16 v27, v23, s4, v7
	v_fma_f16 v7, v22, s5, v1
	v_sub_f16_e32 v23, v28, v26
	v_sub_f16_e32 v31, v30, v32
	v_fma_f16 v1, v22, s2, v1
	v_add_f16_e32 v23, v23, v31
	v_fma_f16 v1, v5, s14, v1
	v_fma_f16 v7, v5, s3, v7
	;; [unrolled: 1-line block ×3, first 2 shown]
	v_add_f16_e32 v1, v0, v2
	v_add_f16_e32 v1, v1, v4
	v_add_f16_e32 v1, v1, v6
	v_add_f16_e32 v48, v1, v37
	v_add_f16_e32 v1, v4, v6
	v_fma_f16 v31, v23, s4, v7
	v_fma_f16 v1, v1, -0.5, v0
	v_sub_f16_e32 v7, v26, v32
	v_fma_f16 v22, v7, s5, v1
	v_sub_f16_e32 v23, v28, v30
	v_sub_f16_e32 v26, v2, v4
	;; [unrolled: 1-line block ×3, first 2 shown]
	v_fma_f16 v1, v7, s2, v1
	v_fma_f16 v22, v23, s14, v22
	v_add_f16_e32 v26, v26, v28
	v_fma_f16 v1, v23, s3, v1
	v_fma_f16 v22, v26, s4, v22
	;; [unrolled: 1-line block ×3, first 2 shown]
	v_add_f16_e32 v1, v2, v37
	v_fma_f16 v0, v1, -0.5, v0
	v_fma_f16 v1, v23, s2, v0
	v_sub_f16_e32 v2, v4, v2
	v_sub_f16_e32 v4, v6, v37
	v_fma_f16 v1, v7, s14, v1
	v_add_f16_e32 v2, v2, v4
	v_fma_f16 v0, v23, s5, v0
	v_fma_f16 v4, v2, s4, v1
	;; [unrolled: 1-line block ×4, first 2 shown]
	v_mul_f16_e32 v1, 0xb8b4, v22
	s_movk_i32 s2, 0x3a79
	v_mul_f16_e32 v2, 0xbb9c, v4
	v_fma_f16 v32, v27, s2, v1
	v_fma_f16 v49, v31, s4, v2
	v_mul_f16_e32 v2, 0xbb9c, v28
	s_mov_b32 s2, 0xb4f2
	v_mul_f16_e32 v22, 0x3a79, v22
	v_mul_f16_e32 v4, 0x34f2, v4
	v_fma_f16 v50, v5, s2, v2
	v_mul_f16_e32 v2, 0xb8b4, v26
	s_mov_b32 s2, 0xba79
	v_fma_f16 v52, v27, s14, v22
	v_fma_f16 v53, v31, s5, v4
	v_mul_f16_e32 v4, 0xb4f2, v28
	v_add_f16_e32 v0, v38, v3
	v_add_f16_e32 v1, v42, v32
	v_fma_f16 v51, v29, s2, v2
	v_add_f16_e32 v23, v41, v48
	v_add_f16_e32 v37, v45, v52
	v_fma_f16 v58, v5, s5, v4
	v_mul_f16_e32 v4, 0xba79, v26
	v_add_f16_e32 v6, v44, v49
	v_add_f16_e32 v7, v21, v50
	;; [unrolled: 1-line block ×5, first 2 shown]
	v_fma_f16 v59, v29, s14, v4
	v_sub_f16_e32 v22, v40, v51
	v_sub_f16_e32 v27, v41, v48
	v_pack_b32_f16 v40, v0, v23
	v_pack_b32_f16 v41, v1, v37
	v_add_f16_e32 v29, v43, v59
	v_sub_f16_e32 v3, v38, v3
	s_barrier
	ds_write2_b32 v39, v40, v41 offset1:13
	v_pack_b32_f16 v40, v6, v31
	v_pack_b32_f16 v41, v7, v30
	v_sub_f16_e32 v4, v42, v32
	v_sub_f16_e32 v5, v44, v49
	v_sub_f16_e32 v26, v45, v52
	v_sub_f16_e32 v28, v46, v53
	ds_write2_b32 v39, v40, v41 offset0:26 offset1:39
	v_pack_b32_f16 v40, v2, v29
	v_pack_b32_f16 v41, v3, v27
	v_sub_f16_e32 v21, v21, v50
	v_sub_f16_e32 v32, v47, v58
	;; [unrolled: 1-line block ×3, first 2 shown]
	ds_write2_b32 v39, v40, v41 offset0:52 offset1:65
	v_pack_b32_f16 v40, v4, v26
	v_pack_b32_f16 v41, v5, v28
	ds_write2_b32 v39, v40, v41 offset0:78 offset1:91
	v_pack_b32_f16 v40, v21, v32
	v_pack_b32_f16 v41, v22, v38
	ds_write2_b32 v39, v40, v41 offset0:104 offset1:117
	s_waitcnt lgkmcnt(0)
	s_barrier
	s_and_saveexec_b64 s[2:3], s[0:1]
	s_cbranch_execz .LBB0_19
; %bb.18:
	v_add_u32_e32 v2, 0x800, v35
	v_add_u32_e32 v4, 0xc00, v35
	;; [unrolled: 1-line block ×3, first 2 shown]
	ds_read2_b32 v[0:1], v35 offset1:130
	ds_read2_b32 v[6:7], v25 offset0:4 offset1:134
	ds_read2_b32 v[2:3], v2 offset0:8 offset1:138
	;; [unrolled: 1-line block ×5, first 2 shown]
	ds_read_b32 v56, v35 offset:6240
	s_waitcnt lgkmcnt(6)
	v_lshrrev_b32_e32 v23, 16, v0
	v_lshrrev_b32_e32 v37, 16, v1
	s_waitcnt lgkmcnt(5)
	v_lshrrev_b32_e32 v31, 16, v6
	v_lshrrev_b32_e32 v30, 16, v7
	;; [unrolled: 3-line block ×6, first 2 shown]
	s_waitcnt lgkmcnt(0)
	v_lshrrev_b32_e32 v57, 16, v56
.LBB0_19:
	s_or_b64 exec, exec, s[2:3]
	s_and_saveexec_b64 s[2:3], s[0:1]
	s_cbranch_execz .LBB0_21
; %bb.20:
	v_mul_f16_sdwa v25, v12, v1 dst_sel:DWORD dst_unused:UNUSED_PAD src0_sel:WORD_1 src1_sel:DWORD
	v_mul_f16_sdwa v24, v19, v56 dst_sel:DWORD dst_unused:UNUSED_PAD src0_sel:WORD_1 src1_sel:DWORD
	v_fma_f16 v25, v12, v37, -v25
	v_mul_f16_sdwa v37, v12, v37 dst_sel:DWORD dst_unused:UNUSED_PAD src0_sel:WORD_1 src1_sel:DWORD
	v_mul_f16_sdwa v42, v13, v6 dst_sel:DWORD dst_unused:UNUSED_PAD src0_sel:WORD_1 src1_sel:DWORD
	v_fma_f16 v24, v19, v57, -v24
	v_fma_f16 v1, v12, v1, v37
	v_mul_f16_sdwa v12, v19, v57 dst_sel:DWORD dst_unused:UNUSED_PAD src0_sel:WORD_1 src1_sel:DWORD
	v_mul_f16_sdwa v41, v18, v34 dst_sel:DWORD dst_unused:UNUSED_PAD src0_sel:WORD_1 src1_sel:DWORD
	v_fma_f16 v42, v13, v31, -v42
	v_mul_f16_sdwa v31, v13, v31 dst_sel:DWORD dst_unused:UNUSED_PAD src0_sel:WORD_1 src1_sel:DWORD
	v_add_f16_e32 v39, v24, v25
	v_fma_f16 v12, v19, v56, v12
	v_fma_f16 v41, v18, v55, -v41
	v_fma_f16 v6, v13, v6, v31
	v_mul_f16_sdwa v13, v18, v55 dst_sel:DWORD dst_unused:UNUSED_PAD src0_sel:WORD_1 src1_sel:DWORD
	v_mul_f16_e32 v40, 0xbbc4, v39
	v_sub_f16_e32 v19, v1, v12
	s_movk_i32 s21, 0x33a8
	v_add_f16_e32 v43, v41, v42
	v_fma_f16 v13, v18, v34, v13
	v_fma_f16 v37, v19, s21, v40
	v_mul_f16_e32 v44, 0x3b15, v43
	v_sub_f16_e32 v18, v6, v13
	s_mov_b32 s15, 0xb770
	v_add_f16_e32 v37, v23, v37
	v_fma_f16 v31, v18, s15, v44
	v_add_f16_e32 v31, v31, v37
	v_mul_f16_sdwa v37, v14, v7 dst_sel:DWORD dst_unused:UNUSED_PAD src0_sel:WORD_1 src1_sel:DWORD
	v_mul_f16_sdwa v34, v17, v33 dst_sel:DWORD dst_unused:UNUSED_PAD src0_sel:WORD_1 src1_sel:DWORD
	v_fma_f16 v37, v14, v30, -v37
	v_mul_f16_sdwa v30, v14, v30 dst_sel:DWORD dst_unused:UNUSED_PAD src0_sel:WORD_1 src1_sel:DWORD
	v_fma_f16 v34, v17, v54, -v34
	v_fma_f16 v7, v14, v7, v30
	v_mul_f16_sdwa v14, v17, v54 dst_sel:DWORD dst_unused:UNUSED_PAD src0_sel:WORD_1 src1_sel:DWORD
	v_add_f16_e32 v45, v34, v37
	v_fma_f16 v14, v17, v33, v14
	v_mul_f16_e32 v46, 0xb9fd, v45
	v_sub_f16_e32 v17, v7, v14
	s_movk_i32 s19, 0x394e
	v_fma_f16 v30, v17, s19, v46
	v_mul_f16_sdwa v33, v15, v2 dst_sel:DWORD dst_unused:UNUSED_PAD src0_sel:WORD_1 src1_sel:DWORD
	v_add_f16_e32 v30, v30, v31
	v_mul_f16_sdwa v31, v16, v22 dst_sel:DWORD dst_unused:UNUSED_PAD src0_sel:WORD_1 src1_sel:DWORD
	v_fma_f16 v33, v15, v29, -v33
	v_mul_f16_sdwa v29, v15, v29 dst_sel:DWORD dst_unused:UNUSED_PAD src0_sel:WORD_1 src1_sel:DWORD
	v_fma_f16 v31, v16, v38, -v31
	v_fma_f16 v2, v15, v2, v29
	v_mul_f16_sdwa v15, v16, v38 dst_sel:DWORD dst_unused:UNUSED_PAD src0_sel:WORD_1 src1_sel:DWORD
	v_add_f16_e32 v47, v31, v33
	v_fma_f16 v15, v16, v22, v15
	v_mul_f16_e32 v48, 0x388b, v47
	v_sub_f16_e32 v16, v2, v15
	v_fma_f16 v22, v16, s18, v48
	v_add_f16_e32 v22, v22, v30
	v_mul_f16_sdwa v30, v8, v3 dst_sel:DWORD dst_unused:UNUSED_PAD src0_sel:WORD_1 src1_sel:DWORD
	v_mul_f16_sdwa v29, v11, v21 dst_sel:DWORD dst_unused:UNUSED_PAD src0_sel:WORD_1 src1_sel:DWORD
	v_fma_f16 v30, v8, v27, -v30
	v_mul_f16_sdwa v27, v8, v27 dst_sel:DWORD dst_unused:UNUSED_PAD src0_sel:WORD_1 src1_sel:DWORD
	v_fma_f16 v29, v11, v32, -v29
	v_fma_f16 v3, v8, v3, v27
	v_mul_f16_sdwa v8, v11, v32 dst_sel:DWORD dst_unused:UNUSED_PAD src0_sel:WORD_1 src1_sel:DWORD
	v_add_f16_e32 v38, v29, v30
	v_fma_f16 v8, v11, v21, v8
	v_mul_f16_e32 v49, 0xb5ac, v38
	v_sub_f16_e32 v11, v3, v8
	s_movk_i32 s27, 0x3b7b
	v_fma_f16 v21, v11, s27, v49
	v_mul_f16_sdwa v27, v9, v4 dst_sel:DWORD dst_unused:UNUSED_PAD src0_sel:WORD_1 src1_sel:DWORD
	v_add_f16_e32 v21, v21, v22
	v_mul_f16_sdwa v22, v10, v5 dst_sel:DWORD dst_unused:UNUSED_PAD src0_sel:WORD_1 src1_sel:DWORD
	v_fma_f16 v27, v9, v26, -v27
	v_mul_f16_sdwa v26, v9, v26 dst_sel:DWORD dst_unused:UNUSED_PAD src0_sel:WORD_1 src1_sel:DWORD
	v_fma_f16 v22, v10, v28, -v22
	v_fma_f16 v4, v9, v4, v26
	v_mul_f16_sdwa v9, v10, v28 dst_sel:DWORD dst_unused:UNUSED_PAD src0_sel:WORD_1 src1_sel:DWORD
	v_add_f16_e32 v32, v22, v27
	v_fma_f16 v5, v10, v5, v9
	v_mul_f16_e32 v50, 0x2fb7, v32
	v_sub_f16_e32 v9, v4, v5
	s_mov_b32 s23, 0xbbf1
	v_fma_f16 v10, v9, s23, v50
	v_sub_f16_e32 v26, v25, v24
	s_mov_b32 s4, 0xbbc4
	v_add_f16_e32 v10, v10, v21
	v_add_f16_e32 v21, v12, v1
	v_mul_f16_e32 v28, 0xb3a8, v26
	v_sub_f16_e32 v53, v42, v41
	s_movk_i32 s5, 0x3b15
	v_fma_f16 v51, v21, s4, v28
	v_add_f16_e32 v52, v13, v6
	v_mul_f16_e32 v54, 0x3770, v53
	v_add_f16_e32 v51, v0, v51
	v_fma_f16 v55, v52, s5, v54
	v_sub_f16_e32 v56, v37, v34
	s_mov_b32 s14, 0xb9fd
	v_add_f16_e32 v51, v55, v51
	v_add_f16_e32 v55, v14, v7
	v_mul_f16_e32 v57, 0xb94e, v56
	v_fma_f16 v58, v55, s14, v57
	v_sub_f16_e32 v59, v33, v31
	s_movk_i32 s16, 0x388b
	v_add_f16_e32 v51, v58, v51
	v_add_f16_e32 v58, v15, v2
	v_mul_f16_e32 v60, 0x3a95, v59
	v_fma_f16 v61, v58, s16, v60
	v_sub_f16_e32 v62, v30, v29
	s_mov_b32 s17, 0xb5ac
	v_add_f16_e32 v51, v61, v51
	v_add_f16_e32 v61, v8, v3
	v_mul_f16_e32 v63, 0xbb7b, v62
	v_fma_f16 v64, v61, s17, v63
	v_sub_f16_e32 v65, v27, v22
	s_movk_i32 s20, 0x2fb7
	v_add_f16_e32 v51, v64, v51
	v_add_f16_e32 v64, v5, v4
	v_mul_f16_e32 v66, 0x3bf1, v65
	v_fma_f16 v67, v64, s20, v66
	v_add_f16_e32 v51, v67, v51
	v_mul_f16_e32 v67, 0xb9fd, v39
	v_fma_f16 v68, v19, s19, v67
	v_mul_f16_e32 v69, 0x2fb7, v43
	v_add_f16_e32 v68, v23, v68
	v_fma_f16 v70, v18, s23, v69
	s_movk_i32 s29, 0x3a95
	v_add_f16_e32 v68, v70, v68
	v_mul_f16_e32 v70, 0x388b, v45
	v_fma_f16 v71, v17, s29, v70
	s_mov_b32 s22, 0xb3a8
	v_add_f16_e32 v68, v71, v68
	v_mul_f16_e32 v71, 0xbbc4, v47
	v_fma_f16 v72, v16, s22, v71
	v_add_f16_e32 v68, v72, v68
	v_mul_f16_e32 v72, 0x3b15, v38
	v_fma_f16 v73, v11, s15, v72
	;; [unrolled: 3-line block ×4, first 2 shown]
	v_mul_f16_e32 v76, 0x3bf1, v53
	v_add_f16_e32 v75, v0, v75
	v_fma_f16 v77, v52, s20, v76
	v_add_f16_e32 v75, v77, v75
	v_mul_f16_e32 v77, 0xba95, v56
	v_fma_f16 v78, v55, s16, v77
	v_add_f16_e32 v75, v78, v75
	v_mul_f16_e32 v78, 0x33a8, v59
	;; [unrolled: 3-line block ×5, first 2 shown]
	v_fma_f16 v82, v19, s27, v81
	v_mul_f16_e32 v83, 0xb9fd, v43
	v_add_f16_e32 v82, v23, v82
	v_fma_f16 v84, v18, s24, v83
	v_add_f16_e32 v82, v84, v82
	v_mul_f16_e32 v84, 0x3b15, v45
	v_fma_f16 v85, v17, s15, v84
	s_movk_i32 s28, 0x3bf1
	v_add_f16_e32 v82, v85, v82
	v_mul_f16_e32 v85, 0x2fb7, v47
	v_fma_f16 v86, v16, s28, v85
	v_add_f16_e32 v82, v86, v82
	v_mul_f16_e32 v86, 0xbbc4, v38
	v_fma_f16 v87, v11, s22, v86
	;; [unrolled: 3-line block ×4, first 2 shown]
	v_mul_f16_e32 v90, 0x394e, v53
	v_add_f16_e32 v89, v0, v89
	v_fma_f16 v91, v52, s14, v90
	v_add_f16_e32 v89, v91, v89
	v_mul_f16_e32 v91, 0x3770, v56
	v_fma_f16 v92, v55, s5, v91
	v_add_f16_e32 v89, v92, v89
	v_mul_f16_e32 v92, 0xbbf1, v59
	v_add_f16_e32 v1, v0, v1
	v_fma_f16 v93, v58, s20, v92
	v_add_f16_e32 v1, v6, v1
	v_add_f16_e32 v89, v93, v89
	v_mul_f16_e32 v93, 0x33a8, v62
	v_add_f16_e32 v1, v7, v1
	v_fma_f16 v94, v61, s4, v93
	v_add_f16_e32 v1, v2, v1
	s_movk_i32 s26, 0x3770
	v_add_f16_e32 v89, v94, v89
	v_mul_f16_e32 v94, 0x3a95, v65
	v_add_f16_e32 v1, v3, v1
	v_fma_f16 v3, v19, s22, v40
	v_fma_f16 v95, v64, s16, v94
	v_add_f16_e32 v1, v4, v1
	v_add_f16_e32 v3, v23, v3
	v_fma_f16 v4, v18, s26, v44
	v_add_f16_e32 v89, v95, v89
	v_mul_f16_e32 v95, 0x2fb7, v39
	v_add_f16_e32 v3, v4, v3
	v_fma_f16 v4, v17, s24, v46
	s_mov_b32 s25, 0xbb7b
	v_fma_f16 v96, v19, s28, v95
	v_mul_f16_e32 v97, 0xbbc4, v43
	v_add_f16_e32 v3, v4, v3
	v_fma_f16 v4, v16, s29, v48
	v_add_f16_e32 v96, v23, v96
	v_fma_f16 v98, v18, s21, v97
	;; [unrolled: 2-line block ×3, first 2 shown]
	v_add_f16_e32 v96, v98, v96
	v_mul_f16_e32 v98, 0xb5ac, v45
	v_add_f16_e32 v3, v4, v3
	v_fma_f16 v4, v9, s28, v50
	v_fma_f16 v99, v17, s25, v98
	v_add_f16_e32 v3, v4, v3
	v_fma_f16 v4, v21, s4, -v28
	v_add_f16_e32 v96, v99, v96
	v_mul_f16_e32 v99, 0x3b15, v47
	v_add_f16_e32 v1, v5, v1
	v_add_f16_e32 v4, v0, v4
	v_fma_f16 v5, v52, s5, -v54
	v_fma_f16 v100, v16, s15, v99
	v_add_f16_e32 v4, v5, v4
	v_fma_f16 v5, v55, s14, -v57
	v_add_f16_e32 v96, v100, v96
	v_mul_f16_e32 v100, 0x388b, v38
	v_add_f16_e32 v4, v5, v4
	v_fma_f16 v5, v58, s16, -v60
	v_fma_f16 v101, v11, s29, v100
	v_add_f16_e32 v4, v5, v4
	v_fma_f16 v5, v61, s17, -v63
	v_add_f16_e32 v96, v101, v96
	v_mul_f16_e32 v101, 0xb9fd, v32
	v_add_f16_e32 v4, v5, v4
	v_fma_f16 v5, v64, s20, -v66
	v_fma_f16 v102, v9, s19, v101
	v_add_f16_e32 v4, v5, v4
	v_fma_f16 v5, v19, s24, v67
	v_add_f16_e32 v96, v102, v96
	v_mul_f16_e32 v102, 0xbbf1, v26
	v_add_f16_e32 v5, v23, v5
	v_fma_f16 v6, v18, s28, v69
	v_fma_f16 v103, v21, s20, v102
	v_mul_f16_e32 v104, 0xb3a8, v53
	v_add_f16_e32 v5, v6, v5
	v_fma_f16 v6, v17, s18, v70
	v_add_f16_e32 v103, v0, v103
	v_fma_f16 v105, v52, s4, v104
	;; [unrolled: 2-line block ×3, first 2 shown]
	v_add_f16_e32 v103, v105, v103
	v_mul_f16_e32 v105, 0x3b7b, v56
	v_add_f16_e32 v5, v6, v5
	v_fma_f16 v6, v11, s26, v72
	v_fma_f16 v106, v55, s17, v105
	v_add_f16_e32 v5, v6, v5
	v_fma_f16 v6, v9, s25, v73
	v_add_f16_e32 v103, v106, v103
	v_mul_f16_e32 v106, 0x3770, v59
	v_add_f16_e32 v5, v6, v5
	v_fma_f16 v6, v21, s14, -v74
	v_fma_f16 v107, v58, s5, v106
	v_add_f16_e32 v6, v0, v6
	v_fma_f16 v7, v52, s20, -v76
	v_add_f16_e32 v103, v107, v103
	v_mul_f16_e32 v107, 0xba95, v62
	v_add_f16_e32 v6, v7, v6
	v_fma_f16 v7, v55, s16, -v77
	v_fma_f16 v108, v61, s16, v107
	v_add_f16_e32 v6, v7, v6
	v_fma_f16 v7, v58, s4, -v78
	;; [unrolled: 7-line block ×3, first 2 shown]
	v_add_f16_e32 v103, v109, v103
	v_mul_f16_e32 v109, 0x388b, v39
	v_add_f16_e32 v6, v7, v6
	v_fma_f16 v7, v19, s25, v81
	v_fma_f16 v110, v19, s29, v109
	v_mul_f16_e32 v111, 0xb5ac, v43
	v_add_f16_e32 v1, v8, v1
	v_add_f16_e32 v7, v23, v7
	v_fma_f16 v8, v18, s19, v83
	v_add_f16_e32 v110, v23, v110
	v_fma_f16 v112, v18, s27, v111
	;; [unrolled: 2-line block ×3, first 2 shown]
	v_add_f16_e32 v110, v112, v110
	v_mul_f16_e32 v112, 0xbbc4, v45
	v_add_f16_e32 v7, v8, v7
	v_fma_f16 v8, v16, s23, v85
	v_fma_f16 v113, v17, s21, v112
	v_add_f16_e32 v1, v15, v1
	v_add_f16_e32 v7, v8, v7
	v_fma_f16 v8, v11, s21, v86
	v_add_f16_e32 v110, v113, v110
	v_mul_f16_e32 v113, 0xb9fd, v47
	v_add_f16_e32 v1, v14, v1
	v_add_f16_e32 v7, v8, v7
	v_fma_f16 v8, v9, s29, v87
	v_fma_f16 v114, v16, s24, v113
	v_add_f16_e32 v1, v13, v1
	v_add_f16_e32 v7, v8, v7
	v_fma_f16 v8, v21, s17, -v88
	v_add_f16_e32 v110, v114, v110
	v_mul_f16_e32 v114, 0x2fb7, v38
	v_add_f16_e32 v1, v12, v1
	v_add_f16_e32 v8, v0, v8
	v_fma_f16 v12, v52, s14, -v90
	v_fma_f16 v115, v11, s23, v114
	v_add_f16_e32 v8, v12, v8
	v_fma_f16 v12, v55, s5, -v91
	v_add_f16_e32 v110, v115, v110
	v_mul_f16_e32 v115, 0x3b15, v32
	v_add_f16_e32 v8, v12, v8
	v_fma_f16 v12, v58, s20, -v92
	v_fma_f16 v116, v9, s15, v115
	v_add_f16_e32 v8, v12, v8
	v_fma_f16 v12, v61, s4, -v93
	v_add_f16_e32 v110, v116, v110
	v_mul_f16_e32 v116, 0xba95, v26
	v_add_f16_e32 v8, v12, v8
	v_fma_f16 v12, v64, s16, -v94
	v_fma_f16 v117, v21, s16, v116
	v_mul_f16_e32 v118, 0xbb7b, v53
	v_add_f16_e32 v8, v12, v8
	v_fma_f16 v12, v19, s23, v95
	v_add_f16_e32 v117, v0, v117
	v_fma_f16 v119, v52, s17, v118
	;; [unrolled: 2-line block ×3, first 2 shown]
	v_add_f16_e32 v117, v119, v117
	v_mul_f16_e32 v119, 0xb3a8, v56
	v_add_f16_e32 v12, v13, v12
	v_fma_f16 v13, v17, s27, v98
	v_fma_f16 v120, v55, s4, v119
	v_add_f16_e32 v12, v13, v12
	v_fma_f16 v13, v16, s26, v99
	v_add_f16_e32 v117, v120, v117
	v_mul_f16_e32 v120, 0x394e, v59
	v_add_f16_e32 v12, v13, v12
	v_fma_f16 v13, v11, s18, v100
	v_fma_f16 v121, v58, s14, v120
	v_add_f16_e32 v12, v13, v12
	v_fma_f16 v13, v9, s24, v101
	v_add_f16_e32 v117, v121, v117
	v_mul_f16_e32 v121, 0x3bf1, v62
	v_add_f16_e32 v12, v13, v12
	v_fma_f16 v13, v21, s20, -v102
	v_fma_f16 v122, v61, s20, v121
	v_add_f16_e32 v13, v0, v13
	v_fma_f16 v14, v52, s4, -v104
	v_add_f16_e32 v117, v122, v117
	v_mul_f16_e32 v122, 0x3770, v65
	v_add_f16_e32 v13, v14, v13
	v_fma_f16 v14, v55, s17, -v105
	v_fma_f16 v123, v64, s5, v122
	v_mul_f16_e32 v39, 0x3b15, v39
	v_add_f16_e32 v13, v14, v13
	v_fma_f16 v14, v58, s5, -v106
	v_add_f16_e32 v117, v123, v117
	v_fma_f16 v123, v19, s26, v39
	v_mul_f16_e32 v43, 0x388b, v43
	v_add_f16_e32 v13, v14, v13
	v_fma_f16 v14, v61, s16, -v107
	v_add_f16_e32 v123, v23, v123
	v_fma_f16 v124, v18, s29, v43
	v_mul_f16_e32 v45, 0x2fb7, v45
	v_add_f16_e32 v2, v25, v23
	v_add_f16_e32 v13, v14, v13
	v_fma_f16 v14, v64, s14, -v108
	v_add_f16_e32 v123, v124, v123
	v_fma_f16 v124, v17, s28, v45
	v_mul_f16_e32 v47, 0xb5ac, v47
	v_add_f16_e32 v2, v42, v2
	v_add_f16_e32 v13, v14, v13
	v_fma_f16 v14, v19, s18, v109
	v_fma_f16 v19, v19, s15, v39
	v_add_f16_e32 v123, v124, v123
	v_fma_f16 v124, v16, s27, v47
	v_mul_f16_e32 v38, 0xb9fd, v38
	v_add_f16_e32 v2, v37, v2
	v_add_f16_e32 v14, v23, v14
	v_fma_f16 v15, v18, s25, v111
	v_add_f16_e32 v19, v23, v19
	v_fma_f16 v18, v18, s18, v43
	v_add_f16_e32 v123, v124, v123
	v_fma_f16 v124, v11, s19, v38
	v_mul_f16_e32 v32, 0xbbc4, v32
	v_add_f16_e32 v2, v33, v2
	v_add_f16_e32 v14, v15, v14
	v_fma_f16 v15, v17, s22, v112
	v_add_f16_e32 v18, v18, v19
	;; [unrolled: 8-line block ×5, first 2 shown]
	v_fma_f16 v9, v9, s22, v32
	v_add_f16_e32 v124, v125, v124
	v_fma_f16 v125, v55, s20, v56
	v_mul_f16_e32 v59, 0xbb7b, v59
	v_add_f16_e32 v2, v29, v2
	v_add_f16_e32 v14, v15, v14
	v_fma_f16 v15, v21, s16, -v116
	v_add_f16_e32 v9, v9, v11
	v_fma_f16 v11, v21, s5, -v26
	v_add_f16_e32 v124, v125, v124
	v_fma_f16 v125, v58, s17, v59
	v_mul_f16_e32 v62, 0xb94e, v62
	v_add_f16_e32 v2, v31, v2
	v_add_f16_e32 v15, v0, v15
	;; [unrolled: 1-line block ×3, first 2 shown]
	v_fma_f16 v11, v52, s16, -v53
	v_add_f16_e32 v124, v125, v124
	v_fma_f16 v125, v61, s14, v62
	v_mul_f16_e32 v65, 0xb3a8, v65
	v_add_f16_e32 v2, v34, v2
	v_add_f16_e32 v0, v11, v0
	v_fma_f16 v11, v55, s20, -v56
	v_add_f16_e32 v124, v125, v124
	v_fma_f16 v125, v64, s4, v65
	v_add_f16_e32 v2, v41, v2
	v_add_f16_e32 v0, v11, v0
	v_fma_f16 v11, v58, s17, -v59
	v_add_f16_e32 v124, v125, v124
	v_add_f16_e32 v2, v24, v2
	v_fma_f16 v22, v52, s17, -v118
	v_add_f16_e32 v0, v11, v0
	v_fma_f16 v11, v61, s14, -v62
	;; [unrolled: 2-line block ×4, first 2 shown]
	v_pack_b32_f16 v1, v1, v2
	v_pack_b32_f16 v2, v124, v123
	v_add_f16_e32 v15, v22, v15
	v_fma_f16 v22, v58, s14, -v120
	v_add_f16_e32 v0, v11, v0
	ds_write2_b32 v35, v1, v2 offset1:130
	v_pack_b32_f16 v1, v117, v110
	v_pack_b32_f16 v2, v103, v96
	v_add_u32_e32 v11, 0x400, v35
	v_add_f16_e32 v15, v22, v15
	v_fma_f16 v22, v61, s20, -v121
	ds_write2_b32 v11, v1, v2 offset0:4 offset1:134
	v_pack_b32_f16 v1, v89, v82
	v_pack_b32_f16 v2, v75, v68
	v_add_u32_e32 v11, 0x800, v35
	v_add_f16_e32 v15, v22, v15
	v_fma_f16 v22, v64, s5, -v122
	ds_write2_b32 v11, v1, v2 offset0:8 offset1:138
	v_pack_b32_f16 v1, v51, v10
	v_pack_b32_f16 v2, v4, v3
	v_add_u32_e32 v3, 0xc00, v35
	v_add_f16_e32 v15, v22, v15
	ds_write2_b32 v3, v1, v2 offset0:12 offset1:142
	v_pack_b32_f16 v1, v6, v5
	v_pack_b32_f16 v2, v8, v7
	v_add_u32_e32 v3, 0x1000, v35
	ds_write2_b32 v3, v1, v2 offset0:16 offset1:146
	v_pack_b32_f16 v1, v13, v12
	v_pack_b32_f16 v2, v15, v14
	v_add_u32_e32 v3, 0x1400, v35
	v_pack_b32_f16 v0, v0, v9
	ds_write2_b32 v3, v1, v2 offset0:20 offset1:150
	ds_write_b32 v35, v0 offset:6240
.LBB0_21:
	s_or_b64 exec, exec, s[2:3]
	s_waitcnt lgkmcnt(0)
	s_barrier
	s_and_b64 exec, exec, s[0:1]
	s_cbranch_execz .LBB0_23
; %bb.22:
	global_load_dword v9, v35, s[6:7]
	ds_read_b32 v10, v35
	global_load_dword v8, v35, s[6:7] offset:520
	global_load_dword v11, v35, s[6:7] offset:1040
	;; [unrolled: 1-line block ×6, first 2 shown]
	s_mov_b32 s14, 0x622898b1
	s_mov_b32 s15, 0x3f4363ac
	v_mad_u64_u32 v[0:1], s[0:1], s10, v20, 0
	s_waitcnt lgkmcnt(0)
	v_lshrrev_b32_e32 v17, 16, v10
	v_mad_u64_u32 v[2:3], s[0:1], s8, v36, 0
	v_mov_b32_e32 v6, s7
	s_movk_i32 s10, 0x1ff
	v_mad_u64_u32 v[19:20], s[0:1], s11, v20, v[1:2]
	v_mov_b32_e32 v4, 0x7c00
	v_add_co_u32_e32 v5, vcc, s6, v35
	v_addc_co_u32_e32 v6, vcc, 0, v6, vcc
	v_mad_u64_u32 v[20:21], s[0:1], s9, v36, v[3:4]
	s_movk_i32 s16, 0xffe
	v_mov_b32_e32 v1, v19
	v_add_u32_e32 v15, 0x200, v35
	ds_read2_b32 v[15:16], v15 offset0:2 offset1:132
	s_movk_i32 s17, 0x40f
	s_mov_b32 s18, 0x8000
	v_lshlrev_b64 v[0:1], 2, v[0:1]
	s_movk_i32 s19, 0x1000
	s_waitcnt lgkmcnt(0)
	v_lshrrev_b32_e32 v21, 16, v15
	s_waitcnt vmcnt(6)
	v_mul_f16_sdwa v18, v17, v9 dst_sel:DWORD dst_unused:UNUSED_PAD src0_sel:DWORD src1_sel:WORD_1
	v_fma_f16 v18, v10, v9, v18
	v_mul_f16_sdwa v10, v10, v9 dst_sel:DWORD dst_unused:UNUSED_PAD src0_sel:DWORD src1_sel:WORD_1
	v_cvt_f32_f16_e32 v18, v18
	v_fma_f16 v9, v9, v17, -v10
	v_cvt_f32_f16_e32 v17, v9
	v_cvt_f64_f32_e32 v[9:10], v18
	v_cvt_f64_f32_e32 v[17:18], v17
	v_mul_f64 v[9:10], v[9:10], s[14:15]
	v_mul_f64 v[17:18], v[17:18], s[14:15]
	v_and_or_b32 v3, v10, s10, v9
	v_cmp_ne_u32_e32 vcc, 0, v3
	v_and_or_b32 v17, v18, s10, v17
	v_lshrrev_b32_e32 v9, 8, v10
	v_bfe_u32 v19, v10, 20, 11
	v_cndmask_b32_e64 v3, 0, 1, vcc
	v_cmp_ne_u32_e32 vcc, 0, v17
	v_lshrrev_b32_e32 v22, 8, v18
	v_bfe_u32 v23, v18, 20, 11
	v_sub_u32_e32 v24, 0x3f1, v19
	v_cndmask_b32_e64 v17, 0, 1, vcc
	v_and_or_b32 v3, v9, s16, v3
	v_sub_u32_e32 v25, 0x3f1, v23
	v_med3_i32 v9, v24, 0, 13
	v_and_or_b32 v17, v22, s16, v17
	v_or_b32_e32 v24, 0x1000, v3
	v_add_u32_e32 v19, 0xfffffc10, v19
	v_med3_i32 v22, v25, 0, 13
	v_cmp_ne_u32_e32 vcc, 0, v3
	v_or_b32_e32 v26, 0x1000, v17
	v_lshrrev_b32_e32 v28, v9, v24
	v_add_u32_e32 v23, 0xfffffc10, v23
	v_lshl_or_b32 v25, v19, 12, v3
	v_cndmask_b32_e64 v3, 0, 1, vcc
	v_cmp_ne_u32_e32 vcc, 0, v17
	v_lshrrev_b32_e32 v29, v22, v26
	v_lshlrev_b32_e32 v9, v9, v28
	v_lshl_or_b32 v27, v23, 12, v17
	v_cndmask_b32_e64 v17, 0, 1, vcc
	v_lshlrev_b32_e32 v22, v22, v29
	v_cmp_ne_u32_e32 vcc, v9, v24
	v_cndmask_b32_e64 v9, 0, 1, vcc
	v_cmp_ne_u32_e32 vcc, v22, v26
	v_cndmask_b32_e64 v22, 0, 1, vcc
	v_or_b32_e32 v9, v28, v9
	v_cmp_gt_i32_e32 vcc, 1, v19
	v_cndmask_b32_e32 v9, v25, v9, vcc
	v_or_b32_e32 v22, v29, v22
	v_cmp_gt_i32_e32 vcc, 1, v23
	v_and_b32_e32 v24, 7, v9
	v_cndmask_b32_e32 v22, v27, v22, vcc
	v_cmp_lt_i32_e32 vcc, 5, v24
	v_cmp_eq_u32_e64 s[0:1], 3, v24
	v_lshrrev_b32_e32 v9, 2, v9
	v_and_b32_e32 v25, 7, v22
	s_or_b64 vcc, s[0:1], vcc
	v_cmp_lt_i32_e64 s[2:3], 5, v25
	v_cmp_eq_u32_e64 s[4:5], 3, v25
	v_addc_co_u32_e32 v9, vcc, 0, v9, vcc
	v_lshrrev_b32_e32 v22, 2, v22
	s_or_b64 vcc, s[4:5], s[2:3]
	v_addc_co_u32_e32 v22, vcc, 0, v22, vcc
	v_cmp_gt_i32_e32 vcc, 31, v19
	v_cndmask_b32_e32 v9, v4, v9, vcc
	v_cmp_gt_i32_e32 vcc, 31, v23
	v_lshl_or_b32 v3, v3, 9, v4
	v_cndmask_b32_e32 v22, v4, v22, vcc
	v_cmp_eq_u32_e32 vcc, s17, v19
	v_lshrrev_b32_e32 v10, 16, v10
	v_cndmask_b32_e32 v3, v9, v3, vcc
	v_and_or_b32 v10, v10, s18, v3
	s_waitcnt vmcnt(5)
	v_mul_f16_sdwa v3, v21, v8 dst_sel:DWORD dst_unused:UNUSED_PAD src0_sel:DWORD src1_sel:WORD_1
	v_lshl_or_b32 v17, v17, 9, v4
	v_cmp_eq_u32_e32 vcc, s17, v23
	v_fma_f16 v3, v15, v8, v3
	v_cndmask_b32_e32 v9, v22, v17, vcc
	v_cvt_f32_f16_e32 v17, v3
	v_lshrrev_b32_e32 v18, 16, v18
	v_and_or_b32 v18, v18, s18, v9
	v_and_b32_e32 v19, 0xffff, v10
	v_cvt_f64_f32_e32 v[9:10], v17
	v_mov_b32_e32 v3, v20
	v_lshl_or_b32 v17, v18, 16, v19
	v_mov_b32_e32 v18, s13
	v_mul_f64 v[9:10], v[9:10], s[14:15]
	v_add_co_u32_e32 v19, vcc, s12, v0
	v_addc_co_u32_e32 v18, vcc, v18, v1, vcc
	v_lshlrev_b64 v[0:1], 2, v[2:3]
	v_mul_f16_sdwa v15, v15, v8 dst_sel:DWORD dst_unused:UNUSED_PAD src0_sel:DWORD src1_sel:WORD_1
	v_add_co_u32_e32 v0, vcc, v19, v0
	v_addc_co_u32_e32 v1, vcc, v18, v1, vcc
	v_and_or_b32 v2, v10, s10, v9
	v_cmp_ne_u32_e32 vcc, 0, v2
	v_cndmask_b32_e64 v2, 0, 1, vcc
	v_lshrrev_b32_e32 v3, 8, v10
	v_and_or_b32 v9, v3, s16, v2
	v_bfe_u32 v3, v10, 20, 11
	global_store_dword v[0:1], v17, off
	v_sub_u32_e32 v17, 0x3f1, v3
	v_or_b32_e32 v2, 0x1000, v9
	v_med3_i32 v17, v17, 0, 13
	v_lshrrev_b32_e32 v18, v17, v2
	v_lshlrev_b32_e32 v17, v17, v18
	v_cmp_ne_u32_e32 vcc, v17, v2
	v_fma_f16 v8, v8, v21, -v15
	v_cndmask_b32_e64 v2, 0, 1, vcc
	v_add_u32_e32 v17, 0xfffffc10, v3
	v_cvt_f32_f16_e32 v8, v8
	v_or_b32_e32 v2, v18, v2
	v_lshl_or_b32 v3, v17, 12, v9
	v_cmp_gt_i32_e32 vcc, 1, v17
	v_cndmask_b32_e32 v2, v3, v2, vcc
	v_and_b32_e32 v3, 7, v2
	v_cmp_lt_i32_e32 vcc, 5, v3
	v_cmp_eq_u32_e64 s[0:1], 3, v3
	v_lshrrev_b32_e32 v15, 2, v2
	v_cvt_f64_f32_e32 v[2:3], v8
	s_or_b64 vcc, s[0:1], vcc
	v_addc_co_u32_e32 v8, vcc, 0, v15, vcc
	v_mul_f64 v[2:3], v[2:3], s[14:15]
	v_cmp_gt_i32_e32 vcc, 31, v17
	v_cndmask_b32_e32 v8, v4, v8, vcc
	v_cmp_ne_u32_e32 vcc, 0, v9
	v_cndmask_b32_e64 v9, 0, 1, vcc
	v_lshl_or_b32 v9, v9, 9, v4
	v_cmp_eq_u32_e32 vcc, s17, v17
	v_cndmask_b32_e32 v8, v8, v9, vcc
	v_and_or_b32 v2, v3, s10, v2
	v_lshrrev_b32_e32 v9, 16, v10
	v_cmp_ne_u32_e32 vcc, 0, v2
	v_and_or_b32 v8, v9, s18, v8
	v_cndmask_b32_e64 v2, 0, 1, vcc
	v_lshrrev_b32_e32 v9, 8, v3
	v_bfe_u32 v10, v3, 20, 11
	v_and_or_b32 v2, v9, s16, v2
	v_sub_u32_e32 v15, 0x3f1, v10
	v_or_b32_e32 v9, 0x1000, v2
	v_med3_i32 v15, v15, 0, 13
	v_lshrrev_b32_e32 v17, v15, v9
	v_lshlrev_b32_e32 v15, v15, v17
	v_cmp_ne_u32_e32 vcc, v15, v9
	v_cndmask_b32_e64 v9, 0, 1, vcc
	v_add_u32_e32 v10, 0xfffffc10, v10
	v_or_b32_e32 v9, v17, v9
	v_lshl_or_b32 v15, v10, 12, v2
	v_cmp_gt_i32_e32 vcc, 1, v10
	v_cndmask_b32_e32 v9, v15, v9, vcc
	v_and_b32_e32 v15, 7, v9
	v_cmp_lt_i32_e32 vcc, 5, v15
	v_cmp_eq_u32_e64 s[0:1], 3, v15
	v_lshrrev_b32_e32 v9, 2, v9
	s_or_b64 vcc, s[0:1], vcc
	v_addc_co_u32_e32 v9, vcc, 0, v9, vcc
	v_cmp_gt_i32_e32 vcc, 31, v10
	v_cndmask_b32_e32 v9, v4, v9, vcc
	v_cmp_ne_u32_e32 vcc, 0, v2
	v_cndmask_b32_e64 v2, 0, 1, vcc
	v_lshl_or_b32 v2, v2, 9, v4
	v_cmp_eq_u32_e32 vcc, s17, v10
	v_cndmask_b32_e32 v2, v9, v2, vcc
	v_lshrrev_b32_e32 v9, 16, v16
	s_waitcnt vmcnt(5)
	v_mul_f16_sdwa v10, v9, v11 dst_sel:DWORD dst_unused:UNUSED_PAD src0_sel:DWORD src1_sel:WORD_1
	v_fma_f16 v10, v16, v11, v10
	v_cvt_f32_f16_e32 v10, v10
	v_lshrrev_b32_e32 v3, 16, v3
	v_and_or_b32 v2, v3, s18, v2
	v_and_b32_e32 v3, 0xffff, v8
	v_lshl_or_b32 v8, v2, 16, v3
	v_cvt_f64_f32_e32 v[2:3], v10
	s_mul_i32 s0, s9, 0x208
	s_mul_hi_u32 s2, s8, 0x208
	s_add_i32 s2, s2, s0
	v_mul_f64 v[2:3], v[2:3], s[14:15]
	s_mul_i32 s3, s8, 0x208
	v_mov_b32_e32 v10, s2
	v_add_co_u32_e32 v0, vcc, s3, v0
	v_addc_co_u32_e32 v1, vcc, v1, v10, vcc
	global_store_dword v[0:1], v8, off
	v_and_or_b32 v2, v3, s10, v2
	v_cmp_ne_u32_e32 vcc, 0, v2
	v_cndmask_b32_e64 v2, 0, 1, vcc
	v_lshrrev_b32_e32 v8, 8, v3
	v_bfe_u32 v10, v3, 20, 11
	v_and_or_b32 v2, v8, s16, v2
	v_sub_u32_e32 v15, 0x3f1, v10
	v_or_b32_e32 v8, 0x1000, v2
	v_med3_i32 v15, v15, 0, 13
	v_lshrrev_b32_e32 v17, v15, v8
	v_mul_f16_sdwa v16, v16, v11 dst_sel:DWORD dst_unused:UNUSED_PAD src0_sel:DWORD src1_sel:WORD_1
	v_lshlrev_b32_e32 v15, v15, v17
	v_fma_f16 v9, v11, v9, -v16
	v_cmp_ne_u32_e32 vcc, v15, v8
	v_cvt_f32_f16_e32 v9, v9
	v_cndmask_b32_e64 v8, 0, 1, vcc
	v_add_u32_e32 v10, 0xfffffc10, v10
	v_or_b32_e32 v8, v17, v8
	v_lshl_or_b32 v15, v10, 12, v2
	v_cmp_gt_i32_e32 vcc, 1, v10
	v_cndmask_b32_e32 v8, v15, v8, vcc
	v_and_b32_e32 v15, 7, v8
	v_lshrrev_b32_e32 v11, 2, v8
	v_cvt_f64_f32_e32 v[8:9], v9
	v_cmp_lt_i32_e32 vcc, 5, v15
	v_cmp_eq_u32_e64 s[0:1], 3, v15
	s_or_b64 vcc, s[0:1], vcc
	v_mul_f64 v[8:9], v[8:9], s[14:15]
	v_addc_co_u32_e32 v11, vcc, 0, v11, vcc
	v_cmp_gt_i32_e32 vcc, 31, v10
	v_cndmask_b32_e32 v11, v4, v11, vcc
	v_cmp_ne_u32_e32 vcc, 0, v2
	v_cndmask_b32_e64 v2, 0, 1, vcc
	v_lshl_or_b32 v2, v2, 9, v4
	v_cmp_eq_u32_e32 vcc, s17, v10
	v_cndmask_b32_e32 v2, v11, v2, vcc
	v_lshrrev_b32_e32 v3, 16, v3
	v_and_or_b32 v15, v3, s18, v2
	v_and_or_b32 v2, v9, s10, v8
	v_cmp_ne_u32_e32 vcc, 0, v2
	v_cndmask_b32_e64 v2, 0, 1, vcc
	v_lshrrev_b32_e32 v3, 8, v9
	v_and_or_b32 v8, v3, s16, v2
	v_bfe_u32 v3, v9, 20, 11
	v_sub_u32_e32 v10, 0x3f1, v3
	v_or_b32_e32 v2, 0x1000, v8
	v_med3_i32 v10, v10, 0, 13
	v_lshrrev_b32_e32 v11, v10, v2
	v_lshlrev_b32_e32 v10, v10, v11
	v_cmp_ne_u32_e32 vcc, v10, v2
	v_cndmask_b32_e64 v2, 0, 1, vcc
	v_add_u32_e32 v10, 0xfffffc10, v3
	v_or_b32_e32 v2, v11, v2
	v_lshl_or_b32 v3, v10, 12, v8
	v_cmp_gt_i32_e32 vcc, 1, v10
	v_cndmask_b32_e32 v2, v3, v2, vcc
	v_and_b32_e32 v3, 7, v2
	v_cmp_lt_i32_e32 vcc, 5, v3
	v_cmp_eq_u32_e64 s[0:1], 3, v3
	v_lshrrev_b32_e32 v2, 2, v2
	s_or_b64 vcc, s[0:1], vcc
	v_addc_co_u32_e32 v11, vcc, 0, v2, vcc
	v_add_u32_e32 v2, 0x600, v35
	ds_read2_b32 v[2:3], v2 offset0:6 offset1:136
	v_cmp_gt_i32_e32 vcc, 31, v10
	v_cndmask_b32_e32 v11, v4, v11, vcc
	v_cmp_ne_u32_e32 vcc, 0, v8
	v_cndmask_b32_e64 v8, 0, 1, vcc
	s_waitcnt lgkmcnt(0)
	v_lshrrev_b32_e32 v16, 16, v2
	s_waitcnt vmcnt(5)
	v_mul_f16_sdwa v17, v16, v12 dst_sel:DWORD dst_unused:UNUSED_PAD src0_sel:DWORD src1_sel:WORD_1
	v_fma_f16 v17, v2, v12, v17
	v_cvt_f32_f16_e32 v17, v17
	v_lshl_or_b32 v8, v8, 9, v4
	v_cmp_eq_u32_e32 vcc, s17, v10
	v_cndmask_b32_e32 v8, v11, v8, vcc
	v_cvt_f64_f32_e32 v[10:11], v17
	v_lshrrev_b32_e32 v9, 16, v9
	v_and_or_b32 v17, v9, s18, v8
	v_add_co_u32_e32 v0, vcc, s3, v0
	v_mul_f64 v[8:9], v[10:11], s[14:15]
	v_mov_b32_e32 v11, s2
	v_and_b32_e32 v15, 0xffff, v15
	v_addc_co_u32_e32 v1, vcc, v1, v11, vcc
	v_lshl_or_b32 v10, v17, 16, v15
	global_store_dword v[0:1], v10, off
	v_mul_f16_sdwa v2, v2, v12 dst_sel:DWORD dst_unused:UNUSED_PAD src0_sel:DWORD src1_sel:WORD_1
	v_and_or_b32 v8, v9, s10, v8
	v_cmp_ne_u32_e32 vcc, 0, v8
	v_cndmask_b32_e64 v8, 0, 1, vcc
	v_lshrrev_b32_e32 v10, 8, v9
	v_bfe_u32 v11, v9, 20, 11
	v_and_or_b32 v8, v10, s16, v8
	v_sub_u32_e32 v15, 0x3f1, v11
	v_or_b32_e32 v10, 0x1000, v8
	v_med3_i32 v15, v15, 0, 13
	v_lshrrev_b32_e32 v17, v15, v10
	v_lshlrev_b32_e32 v15, v15, v17
	v_cmp_ne_u32_e32 vcc, v15, v10
	v_fma_f16 v2, v12, v16, -v2
	v_cndmask_b32_e64 v10, 0, 1, vcc
	v_add_u32_e32 v15, 0xfffffc10, v11
	v_cvt_f32_f16_e32 v2, v2
	v_or_b32_e32 v10, v17, v10
	v_lshl_or_b32 v11, v15, 12, v8
	v_cmp_gt_i32_e32 vcc, 1, v15
	v_cndmask_b32_e32 v10, v11, v10, vcc
	v_and_b32_e32 v11, 7, v10
	v_cmp_lt_i32_e32 vcc, 5, v11
	v_cmp_eq_u32_e64 s[0:1], 3, v11
	v_lshrrev_b32_e32 v12, 2, v10
	v_cvt_f64_f32_e32 v[10:11], v2
	s_or_b64 vcc, s[0:1], vcc
	v_addc_co_u32_e32 v2, vcc, 0, v12, vcc
	v_mul_f64 v[10:11], v[10:11], s[14:15]
	v_cmp_gt_i32_e32 vcc, 31, v15
	v_cndmask_b32_e32 v2, v4, v2, vcc
	v_cmp_ne_u32_e32 vcc, 0, v8
	v_cndmask_b32_e64 v8, 0, 1, vcc
	v_lshl_or_b32 v8, v8, 9, v4
	v_cmp_eq_u32_e32 vcc, s17, v15
	v_cndmask_b32_e32 v2, v2, v8, vcc
	v_lshrrev_b32_e32 v8, 16, v9
	v_and_or_b32 v2, v8, s18, v2
	v_and_or_b32 v8, v11, s10, v10
	v_cmp_ne_u32_e32 vcc, 0, v8
	v_cndmask_b32_e64 v8, 0, 1, vcc
	v_lshrrev_b32_e32 v9, 8, v11
	v_bfe_u32 v10, v11, 20, 11
	v_and_or_b32 v8, v9, s16, v8
	v_sub_u32_e32 v12, 0x3f1, v10
	v_or_b32_e32 v9, 0x1000, v8
	v_med3_i32 v12, v12, 0, 13
	v_lshrrev_b32_e32 v15, v12, v9
	v_lshlrev_b32_e32 v12, v12, v15
	v_cmp_ne_u32_e32 vcc, v12, v9
	v_cndmask_b32_e64 v9, 0, 1, vcc
	v_add_u32_e32 v10, 0xfffffc10, v10
	v_or_b32_e32 v9, v15, v9
	v_lshl_or_b32 v12, v10, 12, v8
	v_cmp_gt_i32_e32 vcc, 1, v10
	v_cndmask_b32_e32 v9, v12, v9, vcc
	v_and_b32_e32 v12, 7, v9
	v_cmp_lt_i32_e32 vcc, 5, v12
	v_cmp_eq_u32_e64 s[0:1], 3, v12
	v_lshrrev_b32_e32 v12, 16, v3
	v_lshrrev_b32_e32 v9, 2, v9
	s_or_b64 vcc, s[0:1], vcc
	s_waitcnt vmcnt(5)
	v_mul_f16_sdwa v15, v12, v13 dst_sel:DWORD dst_unused:UNUSED_PAD src0_sel:DWORD src1_sel:WORD_1
	v_addc_co_u32_e32 v9, vcc, 0, v9, vcc
	v_fma_f16 v15, v3, v13, v15
	v_cmp_gt_i32_e32 vcc, 31, v10
	v_cvt_f32_f16_e32 v15, v15
	v_cndmask_b32_e32 v9, v4, v9, vcc
	v_cmp_ne_u32_e32 vcc, 0, v8
	v_cndmask_b32_e64 v8, 0, 1, vcc
	v_lshl_or_b32 v8, v8, 9, v4
	v_cmp_eq_u32_e32 vcc, s17, v10
	v_cndmask_b32_e32 v10, v9, v8, vcc
	v_cvt_f64_f32_e32 v[8:9], v15
	v_lshrrev_b32_e32 v11, 16, v11
	v_and_or_b32 v10, v11, s18, v10
	v_and_b32_e32 v2, 0xffff, v2
	v_mul_f64 v[8:9], v[8:9], s[14:15]
	v_lshl_or_b32 v2, v10, 16, v2
	v_mov_b32_e32 v10, s2
	v_add_co_u32_e32 v0, vcc, s3, v0
	v_addc_co_u32_e32 v1, vcc, v1, v10, vcc
	global_store_dword v[0:1], v2, off
	v_and_or_b32 v2, v9, s10, v8
	v_cmp_ne_u32_e32 vcc, 0, v2
	v_cndmask_b32_e64 v2, 0, 1, vcc
	v_lshrrev_b32_e32 v8, 8, v9
	v_bfe_u32 v10, v9, 20, 11
	v_and_or_b32 v8, v8, s16, v2
	v_sub_u32_e32 v11, 0x3f1, v10
	v_or_b32_e32 v2, 0x1000, v8
	v_med3_i32 v11, v11, 0, 13
	v_lshrrev_b32_e32 v15, v11, v2
	v_lshlrev_b32_e32 v11, v11, v15
	v_mul_f16_sdwa v3, v3, v13 dst_sel:DWORD dst_unused:UNUSED_PAD src0_sel:DWORD src1_sel:WORD_1
	v_cmp_ne_u32_e32 vcc, v11, v2
	v_fma_f16 v3, v13, v12, -v3
	v_cndmask_b32_e64 v2, 0, 1, vcc
	v_add_u32_e32 v10, 0xfffffc10, v10
	v_cvt_f32_f16_e32 v3, v3
	v_or_b32_e32 v2, v15, v2
	v_lshl_or_b32 v11, v10, 12, v8
	v_cmp_gt_i32_e32 vcc, 1, v10
	v_cndmask_b32_e32 v2, v11, v2, vcc
	v_and_b32_e32 v11, 7, v2
	v_cmp_lt_i32_e32 vcc, 5, v11
	v_cmp_eq_u32_e64 s[0:1], 3, v11
	v_lshrrev_b32_e32 v11, 2, v2
	v_cvt_f64_f32_e32 v[2:3], v3
	s_or_b64 vcc, s[0:1], vcc
	v_addc_co_u32_e32 v11, vcc, 0, v11, vcc
	v_mul_f64 v[2:3], v[2:3], s[14:15]
	v_cmp_gt_i32_e32 vcc, 31, v10
	v_cndmask_b32_e32 v11, v4, v11, vcc
	v_cmp_ne_u32_e32 vcc, 0, v8
	v_cndmask_b32_e64 v8, 0, 1, vcc
	v_lshl_or_b32 v8, v8, 9, v4
	v_cmp_eq_u32_e32 vcc, s17, v10
	v_cndmask_b32_e32 v8, v11, v8, vcc
	v_and_or_b32 v2, v3, s10, v2
	v_lshrrev_b32_e32 v9, 16, v9
	v_cmp_ne_u32_e32 vcc, 0, v2
	v_and_or_b32 v12, v9, s18, v8
	v_cndmask_b32_e64 v2, 0, 1, vcc
	v_lshrrev_b32_e32 v8, 8, v3
	v_bfe_u32 v9, v3, 20, 11
	v_and_or_b32 v2, v8, s16, v2
	v_sub_u32_e32 v10, 0x3f1, v9
	v_or_b32_e32 v8, 0x1000, v2
	v_med3_i32 v10, v10, 0, 13
	v_lshrrev_b32_e32 v11, v10, v8
	v_lshlrev_b32_e32 v10, v10, v11
	v_cmp_ne_u32_e32 vcc, v10, v8
	v_cndmask_b32_e64 v8, 0, 1, vcc
	v_add_u32_e32 v10, 0xfffffc10, v9
	v_or_b32_e32 v8, v11, v8
	v_lshl_or_b32 v9, v10, 12, v2
	v_cmp_gt_i32_e32 vcc, 1, v10
	v_cndmask_b32_e32 v8, v9, v8, vcc
	v_and_b32_e32 v9, 7, v8
	v_cmp_lt_i32_e32 vcc, 5, v9
	v_cmp_eq_u32_e64 s[0:1], 3, v9
	v_lshrrev_b32_e32 v8, 2, v8
	s_or_b64 vcc, s[0:1], vcc
	v_addc_co_u32_e32 v11, vcc, 0, v8, vcc
	v_add_u32_e32 v8, 0xa00, v35
	ds_read2_b32 v[8:9], v8 offset0:10 offset1:140
	v_cmp_gt_i32_e32 vcc, 31, v10
	v_cndmask_b32_e32 v11, v4, v11, vcc
	v_cmp_ne_u32_e32 vcc, 0, v2
	v_cndmask_b32_e64 v2, 0, 1, vcc
	s_waitcnt lgkmcnt(0)
	v_lshrrev_b32_e32 v13, 16, v8
	s_waitcnt vmcnt(5)
	v_mul_f16_sdwa v15, v13, v14 dst_sel:DWORD dst_unused:UNUSED_PAD src0_sel:DWORD src1_sel:WORD_1
	v_fma_f16 v15, v8, v14, v15
	v_cvt_f32_f16_e32 v15, v15
	v_lshl_or_b32 v2, v2, 9, v4
	v_cmp_eq_u32_e32 vcc, s17, v10
	v_cndmask_b32_e32 v2, v11, v2, vcc
	v_cvt_f64_f32_e32 v[10:11], v15
	v_lshrrev_b32_e32 v3, 16, v3
	v_and_or_b32 v15, v3, s18, v2
	v_add_co_u32_e32 v0, vcc, s3, v0
	v_mul_f64 v[2:3], v[10:11], s[14:15]
	v_mov_b32_e32 v11, s2
	v_and_b32_e32 v12, 0xffff, v12
	v_addc_co_u32_e32 v1, vcc, v1, v11, vcc
	v_lshl_or_b32 v10, v15, 16, v12
	global_store_dword v[0:1], v10, off
	v_mul_f16_sdwa v8, v8, v14 dst_sel:DWORD dst_unused:UNUSED_PAD src0_sel:DWORD src1_sel:WORD_1
	v_and_or_b32 v2, v3, s10, v2
	v_cmp_ne_u32_e32 vcc, 0, v2
	v_cndmask_b32_e64 v2, 0, 1, vcc
	v_lshrrev_b32_e32 v10, 8, v3
	v_bfe_u32 v11, v3, 20, 11
	v_and_or_b32 v2, v10, s16, v2
	v_sub_u32_e32 v12, 0x3f1, v11
	v_or_b32_e32 v10, 0x1000, v2
	v_med3_i32 v12, v12, 0, 13
	v_lshrrev_b32_e32 v15, v12, v10
	v_lshlrev_b32_e32 v12, v12, v15
	v_cmp_ne_u32_e32 vcc, v12, v10
	v_fma_f16 v8, v14, v13, -v8
	v_cndmask_b32_e64 v10, 0, 1, vcc
	v_add_u32_e32 v12, 0xfffffc10, v11
	v_cvt_f32_f16_e32 v8, v8
	v_or_b32_e32 v10, v15, v10
	v_lshl_or_b32 v11, v12, 12, v2
	v_cmp_gt_i32_e32 vcc, 1, v12
	v_cndmask_b32_e32 v10, v11, v10, vcc
	v_and_b32_e32 v11, 7, v10
	v_cmp_lt_i32_e32 vcc, 5, v11
	v_cmp_eq_u32_e64 s[0:1], 3, v11
	v_lshrrev_b32_e32 v13, 2, v10
	v_cvt_f64_f32_e32 v[10:11], v8
	s_or_b64 vcc, s[0:1], vcc
	v_addc_co_u32_e32 v8, vcc, 0, v13, vcc
	v_mul_f64 v[10:11], v[10:11], s[14:15]
	v_cmp_gt_i32_e32 vcc, 31, v12
	v_cndmask_b32_e32 v8, v4, v8, vcc
	v_cmp_ne_u32_e32 vcc, 0, v2
	v_cndmask_b32_e64 v2, 0, 1, vcc
	v_lshl_or_b32 v2, v2, 9, v4
	v_cmp_eq_u32_e32 vcc, s17, v12
	v_cndmask_b32_e32 v2, v8, v2, vcc
	v_lshrrev_b32_e32 v3, 16, v3
	v_and_or_b32 v8, v3, s18, v2
	v_and_or_b32 v2, v11, s10, v10
	v_cmp_ne_u32_e32 vcc, 0, v2
	v_cndmask_b32_e64 v2, 0, 1, vcc
	v_lshrrev_b32_e32 v3, 8, v11
	v_bfe_u32 v10, v11, 20, 11
	v_and_or_b32 v2, v3, s16, v2
	v_sub_u32_e32 v12, 0x3f1, v10
	v_or_b32_e32 v3, 0x1000, v2
	v_med3_i32 v12, v12, 0, 13
	v_lshrrev_b32_e32 v13, v12, v3
	v_lshlrev_b32_e32 v12, v12, v13
	v_cmp_ne_u32_e32 vcc, v12, v3
	v_cndmask_b32_e64 v3, 0, 1, vcc
	v_add_u32_e32 v10, 0xfffffc10, v10
	v_or_b32_e32 v3, v13, v3
	v_lshl_or_b32 v12, v10, 12, v2
	v_cmp_gt_i32_e32 vcc, 1, v10
	v_cndmask_b32_e32 v3, v12, v3, vcc
	v_and_b32_e32 v12, 7, v3
	v_cmp_lt_i32_e32 vcc, 5, v12
	v_cmp_eq_u32_e64 s[0:1], 3, v12
	v_lshrrev_b32_e32 v12, 16, v9
	v_lshrrev_b32_e32 v3, 2, v3
	s_or_b64 vcc, s[0:1], vcc
	s_waitcnt vmcnt(5)
	v_mul_f16_sdwa v13, v12, v7 dst_sel:DWORD dst_unused:UNUSED_PAD src0_sel:DWORD src1_sel:WORD_1
	v_addc_co_u32_e32 v3, vcc, 0, v3, vcc
	v_fma_f16 v13, v9, v7, v13
	v_cmp_gt_i32_e32 vcc, 31, v10
	v_cvt_f32_f16_e32 v13, v13
	v_cndmask_b32_e32 v3, v4, v3, vcc
	v_cmp_ne_u32_e32 vcc, 0, v2
	v_cndmask_b32_e64 v2, 0, 1, vcc
	v_lshl_or_b32 v2, v2, 9, v4
	v_cmp_eq_u32_e32 vcc, s17, v10
	v_cndmask_b32_e32 v10, v3, v2, vcc
	v_cvt_f64_f32_e32 v[2:3], v13
	global_load_dword v13, v35, s[6:7] offset:3640
	v_lshrrev_b32_e32 v11, 16, v11
	v_and_or_b32 v10, v11, s18, v10
	v_mul_f64 v[2:3], v[2:3], s[14:15]
	v_and_b32_e32 v8, 0xffff, v8
	v_lshl_or_b32 v8, v10, 16, v8
	v_mov_b32_e32 v11, s2
	v_add_co_u32_e32 v10, vcc, s3, v0
	v_addc_co_u32_e32 v11, vcc, v1, v11, vcc
	v_and_or_b32 v0, v3, s10, v2
	v_cmp_ne_u32_e32 vcc, 0, v0
	v_cndmask_b32_e64 v0, 0, 1, vcc
	v_lshrrev_b32_e32 v1, 8, v3
	v_and_or_b32 v2, v1, s16, v0
	v_bfe_u32 v1, v3, 20, 11
	global_store_dword v[10:11], v8, off
	v_sub_u32_e32 v8, 0x3f1, v1
	v_or_b32_e32 v0, 0x1000, v2
	v_med3_i32 v8, v8, 0, 13
	v_lshrrev_b32_e32 v14, v8, v0
	v_lshlrev_b32_e32 v8, v8, v14
	v_mul_f16_sdwa v9, v9, v7 dst_sel:DWORD dst_unused:UNUSED_PAD src0_sel:DWORD src1_sel:WORD_1
	v_cmp_ne_u32_e32 vcc, v8, v0
	v_fma_f16 v7, v7, v12, -v9
	v_cndmask_b32_e64 v0, 0, 1, vcc
	v_add_u32_e32 v8, 0xfffffc10, v1
	v_cvt_f32_f16_e32 v7, v7
	v_or_b32_e32 v0, v14, v0
	v_lshl_or_b32 v1, v8, 12, v2
	v_cmp_gt_i32_e32 vcc, 1, v8
	v_cndmask_b32_e32 v0, v1, v0, vcc
	v_and_b32_e32 v1, 7, v0
	v_cmp_lt_i32_e32 vcc, 5, v1
	v_cmp_eq_u32_e64 s[0:1], 3, v1
	v_lshrrev_b32_e32 v9, 2, v0
	v_cvt_f64_f32_e32 v[0:1], v7
	s_or_b64 vcc, s[0:1], vcc
	v_addc_co_u32_e32 v7, vcc, 0, v9, vcc
	v_mul_f64 v[0:1], v[0:1], s[14:15]
	v_cmp_gt_i32_e32 vcc, 31, v8
	v_cndmask_b32_e32 v7, v4, v7, vcc
	v_cmp_ne_u32_e32 vcc, 0, v2
	v_cndmask_b32_e64 v2, 0, 1, vcc
	v_lshl_or_b32 v2, v2, 9, v4
	v_cmp_eq_u32_e32 vcc, s17, v8
	v_cndmask_b32_e32 v2, v7, v2, vcc
	v_and_or_b32 v0, v1, s10, v0
	v_lshrrev_b32_e32 v3, 16, v3
	v_cmp_ne_u32_e32 vcc, 0, v0
	v_and_or_b32 v9, v3, s18, v2
	v_cndmask_b32_e64 v0, 0, 1, vcc
	v_lshrrev_b32_e32 v2, 8, v1
	v_bfe_u32 v3, v1, 20, 11
	v_and_or_b32 v0, v2, s16, v0
	v_sub_u32_e32 v7, 0x3f1, v3
	v_or_b32_e32 v2, 0x1000, v0
	v_med3_i32 v7, v7, 0, 13
	v_lshrrev_b32_e32 v8, v7, v2
	v_lshlrev_b32_e32 v7, v7, v8
	v_cmp_ne_u32_e32 vcc, v7, v2
	v_cndmask_b32_e64 v2, 0, 1, vcc
	v_add_u32_e32 v7, 0xfffffc10, v3
	v_or_b32_e32 v2, v8, v2
	v_lshl_or_b32 v3, v7, 12, v0
	v_cmp_gt_i32_e32 vcc, 1, v7
	v_cndmask_b32_e32 v2, v3, v2, vcc
	v_and_b32_e32 v3, 7, v2
	v_cmp_lt_i32_e32 vcc, 5, v3
	v_cmp_eq_u32_e64 s[0:1], 3, v3
	v_lshrrev_b32_e32 v2, 2, v2
	s_or_b64 vcc, s[0:1], vcc
	v_addc_co_u32_e32 v8, vcc, 0, v2, vcc
	v_add_u32_e32 v2, 0xe00, v35
	ds_read2_b32 v[2:3], v2 offset0:14 offset1:144
	v_cmp_gt_i32_e32 vcc, 31, v7
	v_cndmask_b32_e32 v8, v4, v8, vcc
	v_cmp_ne_u32_e32 vcc, 0, v0
	v_cndmask_b32_e64 v0, 0, 1, vcc
	s_waitcnt lgkmcnt(0)
	v_lshrrev_b32_e32 v12, 16, v2
	s_waitcnt vmcnt(1)
	v_mul_f16_sdwa v14, v12, v13 dst_sel:DWORD dst_unused:UNUSED_PAD src0_sel:DWORD src1_sel:WORD_1
	v_fma_f16 v14, v2, v13, v14
	v_cvt_f32_f16_e32 v14, v14
	v_lshl_or_b32 v0, v0, 9, v4
	v_cmp_eq_u32_e32 vcc, s17, v7
	v_cndmask_b32_e32 v0, v8, v0, vcc
	v_lshrrev_b32_e32 v1, 16, v1
	v_cvt_f64_f32_e32 v[7:8], v14
	v_and_or_b32 v14, v1, s18, v0
	v_add_co_u32_e32 v0, vcc, s19, v5
	v_addc_co_u32_e32 v1, vcc, 0, v6, vcc
	global_load_dword v15, v[0:1], off offset:64
	v_mul_f64 v[7:8], v[7:8], s[14:15]
	v_mov_b32_e32 v6, s2
	v_add_co_u32_e32 v5, vcc, s3, v10
	v_and_b32_e32 v9, 0xffff, v9
	v_addc_co_u32_e32 v6, vcc, v11, v6, vcc
	v_lshl_or_b32 v9, v14, 16, v9
	v_and_or_b32 v7, v8, s10, v7
	v_cmp_ne_u32_e32 vcc, 0, v7
	global_store_dword v[5:6], v9, off
	v_cndmask_b32_e64 v7, 0, 1, vcc
	v_lshrrev_b32_e32 v9, 8, v8
	v_bfe_u32 v10, v8, 20, 11
	v_and_or_b32 v7, v9, s16, v7
	v_sub_u32_e32 v11, 0x3f1, v10
	v_or_b32_e32 v9, 0x1000, v7
	v_med3_i32 v11, v11, 0, 13
	v_lshrrev_b32_e32 v14, v11, v9
	v_lshlrev_b32_e32 v11, v11, v14
	v_mul_f16_sdwa v2, v2, v13 dst_sel:DWORD dst_unused:UNUSED_PAD src0_sel:DWORD src1_sel:WORD_1
	v_cmp_ne_u32_e32 vcc, v11, v9
	v_fma_f16 v2, v13, v12, -v2
	v_cndmask_b32_e64 v9, 0, 1, vcc
	v_add_u32_e32 v11, 0xfffffc10, v10
	v_cvt_f32_f16_e32 v2, v2
	v_or_b32_e32 v9, v14, v9
	v_lshl_or_b32 v10, v11, 12, v7
	v_cmp_gt_i32_e32 vcc, 1, v11
	v_cndmask_b32_e32 v9, v10, v9, vcc
	v_and_b32_e32 v10, 7, v9
	v_cmp_lt_i32_e32 vcc, 5, v10
	v_cmp_eq_u32_e64 s[0:1], 3, v10
	v_lshrrev_b32_e32 v12, 2, v9
	v_cvt_f64_f32_e32 v[9:10], v2
	s_or_b64 vcc, s[0:1], vcc
	v_addc_co_u32_e32 v2, vcc, 0, v12, vcc
	v_mul_f64 v[9:10], v[9:10], s[14:15]
	v_cmp_gt_i32_e32 vcc, 31, v11
	v_cndmask_b32_e32 v2, v4, v2, vcc
	v_cmp_ne_u32_e32 vcc, 0, v7
	v_cndmask_b32_e64 v7, 0, 1, vcc
	v_lshl_or_b32 v7, v7, 9, v4
	v_cmp_eq_u32_e32 vcc, s17, v11
	v_cndmask_b32_e32 v2, v2, v7, vcc
	v_lshrrev_b32_e32 v7, 16, v8
	v_and_or_b32 v2, v7, s18, v2
	v_and_or_b32 v7, v10, s10, v9
	v_cmp_ne_u32_e32 vcc, 0, v7
	v_cndmask_b32_e64 v7, 0, 1, vcc
	v_lshrrev_b32_e32 v8, 8, v10
	v_bfe_u32 v9, v10, 20, 11
	v_and_or_b32 v7, v8, s16, v7
	v_sub_u32_e32 v11, 0x3f1, v9
	v_or_b32_e32 v8, 0x1000, v7
	v_med3_i32 v11, v11, 0, 13
	v_lshrrev_b32_e32 v12, v11, v8
	v_lshlrev_b32_e32 v11, v11, v12
	v_cmp_ne_u32_e32 vcc, v11, v8
	v_cndmask_b32_e64 v8, 0, 1, vcc
	v_or_b32_e32 v8, v12, v8
	global_load_dword v12, v[0:1], off offset:584
	global_load_dword v13, v[0:1], off offset:1104
	;; [unrolled: 1-line block ×3, first 2 shown]
	v_add_u32_e32 v9, 0xfffffc10, v9
	v_lshl_or_b32 v11, v9, 12, v7
	v_cmp_gt_i32_e32 vcc, 1, v9
	v_cndmask_b32_e32 v8, v11, v8, vcc
	v_and_b32_e32 v11, 7, v8
	v_cmp_lt_i32_e32 vcc, 5, v11
	v_cmp_eq_u32_e64 s[0:1], 3, v11
	v_lshrrev_b32_e32 v11, 16, v3
	v_lshrrev_b32_e32 v8, 2, v8
	s_or_b64 vcc, s[0:1], vcc
	v_addc_co_u32_e32 v8, vcc, 0, v8, vcc
	v_cmp_gt_i32_e32 vcc, 31, v9
	v_cndmask_b32_e32 v8, v4, v8, vcc
	v_cmp_ne_u32_e32 vcc, 0, v7
	v_cndmask_b32_e64 v7, 0, 1, vcc
	s_waitcnt vmcnt(4)
	v_mul_f16_sdwa v16, v11, v15 dst_sel:DWORD dst_unused:UNUSED_PAD src0_sel:DWORD src1_sel:WORD_1
	v_fma_f16 v16, v3, v15, v16
	v_cvt_f32_f16_e32 v16, v16
	v_lshl_or_b32 v7, v7, 9, v4
	v_cmp_eq_u32_e32 vcc, s17, v9
	v_cndmask_b32_e32 v9, v8, v7, vcc
	v_cvt_f64_f32_e32 v[7:8], v16
	v_lshrrev_b32_e32 v10, 16, v10
	v_and_or_b32 v9, v10, s18, v9
	v_and_b32_e32 v2, 0xffff, v2
	v_mul_f64 v[7:8], v[7:8], s[14:15]
	v_lshl_or_b32 v2, v9, 16, v2
	v_mov_b32_e32 v9, s2
	v_add_co_u32_e32 v5, vcc, s3, v5
	v_addc_co_u32_e32 v6, vcc, v6, v9, vcc
	global_store_dword v[5:6], v2, off
	v_and_or_b32 v2, v8, s10, v7
	v_cmp_ne_u32_e32 vcc, 0, v2
	v_cndmask_b32_e64 v2, 0, 1, vcc
	v_lshrrev_b32_e32 v7, 8, v8
	v_bfe_u32 v9, v8, 20, 11
	v_and_or_b32 v7, v7, s16, v2
	v_sub_u32_e32 v10, 0x3f1, v9
	v_or_b32_e32 v2, 0x1000, v7
	v_med3_i32 v10, v10, 0, 13
	v_lshrrev_b32_e32 v16, v10, v2
	v_lshlrev_b32_e32 v10, v10, v16
	v_mul_f16_sdwa v3, v3, v15 dst_sel:DWORD dst_unused:UNUSED_PAD src0_sel:DWORD src1_sel:WORD_1
	v_cmp_ne_u32_e32 vcc, v10, v2
	v_fma_f16 v3, v15, v11, -v3
	v_cndmask_b32_e64 v2, 0, 1, vcc
	v_add_u32_e32 v9, 0xfffffc10, v9
	v_cvt_f32_f16_e32 v3, v3
	v_or_b32_e32 v2, v16, v2
	v_lshl_or_b32 v10, v9, 12, v7
	v_cmp_gt_i32_e32 vcc, 1, v9
	v_cndmask_b32_e32 v2, v10, v2, vcc
	v_and_b32_e32 v10, 7, v2
	v_cmp_lt_i32_e32 vcc, 5, v10
	v_cmp_eq_u32_e64 s[0:1], 3, v10
	v_lshrrev_b32_e32 v10, 2, v2
	v_cvt_f64_f32_e32 v[2:3], v3
	s_or_b64 vcc, s[0:1], vcc
	v_addc_co_u32_e32 v10, vcc, 0, v10, vcc
	v_mul_f64 v[2:3], v[2:3], s[14:15]
	v_cmp_gt_i32_e32 vcc, 31, v9
	v_cndmask_b32_e32 v10, v4, v10, vcc
	v_cmp_ne_u32_e32 vcc, 0, v7
	v_cndmask_b32_e64 v7, 0, 1, vcc
	v_lshl_or_b32 v7, v7, 9, v4
	v_cmp_eq_u32_e32 vcc, s17, v9
	v_cndmask_b32_e32 v7, v10, v7, vcc
	v_and_or_b32 v2, v3, s10, v2
	v_lshrrev_b32_e32 v8, 16, v8
	v_cmp_ne_u32_e32 vcc, 0, v2
	v_and_or_b32 v11, v8, s18, v7
	v_cndmask_b32_e64 v2, 0, 1, vcc
	v_lshrrev_b32_e32 v7, 8, v3
	v_bfe_u32 v8, v3, 20, 11
	v_and_or_b32 v2, v7, s16, v2
	v_sub_u32_e32 v9, 0x3f1, v8
	v_or_b32_e32 v7, 0x1000, v2
	v_med3_i32 v9, v9, 0, 13
	v_lshrrev_b32_e32 v10, v9, v7
	v_lshlrev_b32_e32 v9, v9, v10
	v_cmp_ne_u32_e32 vcc, v9, v7
	v_cndmask_b32_e64 v7, 0, 1, vcc
	v_add_u32_e32 v9, 0xfffffc10, v8
	v_or_b32_e32 v7, v10, v7
	v_lshl_or_b32 v8, v9, 12, v2
	v_cmp_gt_i32_e32 vcc, 1, v9
	v_cndmask_b32_e32 v7, v8, v7, vcc
	v_and_b32_e32 v8, 7, v7
	v_cmp_lt_i32_e32 vcc, 5, v8
	v_cmp_eq_u32_e64 s[0:1], 3, v8
	v_lshrrev_b32_e32 v7, 2, v7
	s_or_b64 vcc, s[0:1], vcc
	v_addc_co_u32_e32 v10, vcc, 0, v7, vcc
	v_add_u32_e32 v7, 0x1200, v35
	ds_read2_b32 v[7:8], v7 offset0:18 offset1:148
	v_cmp_gt_i32_e32 vcc, 31, v9
	v_cndmask_b32_e32 v10, v4, v10, vcc
	v_cmp_ne_u32_e32 vcc, 0, v2
	v_cndmask_b32_e64 v2, 0, 1, vcc
	s_waitcnt lgkmcnt(0)
	v_lshrrev_b32_e32 v15, 16, v7
	s_waitcnt vmcnt(3)
	v_mul_f16_sdwa v16, v15, v12 dst_sel:DWORD dst_unused:UNUSED_PAD src0_sel:DWORD src1_sel:WORD_1
	v_fma_f16 v16, v7, v12, v16
	v_cvt_f32_f16_e32 v16, v16
	v_lshl_or_b32 v2, v2, 9, v4
	v_cmp_eq_u32_e32 vcc, s17, v9
	v_cndmask_b32_e32 v2, v10, v2, vcc
	v_cvt_f64_f32_e32 v[9:10], v16
	v_lshrrev_b32_e32 v3, 16, v3
	v_and_or_b32 v16, v3, s18, v2
	v_add_co_u32_e32 v5, vcc, s3, v5
	v_mul_f64 v[2:3], v[9:10], s[14:15]
	v_mov_b32_e32 v10, s2
	v_and_b32_e32 v11, 0xffff, v11
	v_addc_co_u32_e32 v6, vcc, v6, v10, vcc
	v_lshl_or_b32 v9, v16, 16, v11
	global_store_dword v[5:6], v9, off
	v_mul_f16_sdwa v7, v7, v12 dst_sel:DWORD dst_unused:UNUSED_PAD src0_sel:DWORD src1_sel:WORD_1
	v_and_or_b32 v2, v3, s10, v2
	v_cmp_ne_u32_e32 vcc, 0, v2
	v_cndmask_b32_e64 v2, 0, 1, vcc
	v_lshrrev_b32_e32 v9, 8, v3
	v_bfe_u32 v10, v3, 20, 11
	v_and_or_b32 v2, v9, s16, v2
	v_sub_u32_e32 v11, 0x3f1, v10
	v_or_b32_e32 v9, 0x1000, v2
	v_med3_i32 v11, v11, 0, 13
	v_lshrrev_b32_e32 v16, v11, v9
	v_lshlrev_b32_e32 v11, v11, v16
	v_cmp_ne_u32_e32 vcc, v11, v9
	v_fma_f16 v7, v12, v15, -v7
	v_cndmask_b32_e64 v9, 0, 1, vcc
	v_add_u32_e32 v11, 0xfffffc10, v10
	v_cvt_f32_f16_e32 v7, v7
	v_or_b32_e32 v9, v16, v9
	v_lshl_or_b32 v10, v11, 12, v2
	v_cmp_gt_i32_e32 vcc, 1, v11
	v_cndmask_b32_e32 v9, v10, v9, vcc
	v_and_b32_e32 v10, 7, v9
	v_cmp_lt_i32_e32 vcc, 5, v10
	v_cmp_eq_u32_e64 s[0:1], 3, v10
	v_lshrrev_b32_e32 v12, 2, v9
	v_cvt_f64_f32_e32 v[9:10], v7
	s_or_b64 vcc, s[0:1], vcc
	v_addc_co_u32_e32 v7, vcc, 0, v12, vcc
	v_mul_f64 v[9:10], v[9:10], s[14:15]
	v_cmp_gt_i32_e32 vcc, 31, v11
	v_cndmask_b32_e32 v7, v4, v7, vcc
	v_cmp_ne_u32_e32 vcc, 0, v2
	v_cndmask_b32_e64 v2, 0, 1, vcc
	v_lshl_or_b32 v2, v2, 9, v4
	v_cmp_eq_u32_e32 vcc, s17, v11
	v_cndmask_b32_e32 v2, v7, v2, vcc
	v_lshrrev_b32_e32 v3, 16, v3
	v_and_or_b32 v7, v3, s18, v2
	v_and_or_b32 v2, v10, s10, v9
	v_cmp_ne_u32_e32 vcc, 0, v2
	v_cndmask_b32_e64 v2, 0, 1, vcc
	v_lshrrev_b32_e32 v3, 8, v10
	v_bfe_u32 v9, v10, 20, 11
	v_and_or_b32 v2, v3, s16, v2
	v_sub_u32_e32 v11, 0x3f1, v9
	v_or_b32_e32 v3, 0x1000, v2
	v_med3_i32 v11, v11, 0, 13
	v_lshrrev_b32_e32 v12, v11, v3
	v_lshlrev_b32_e32 v11, v11, v12
	v_cmp_ne_u32_e32 vcc, v11, v3
	v_cndmask_b32_e64 v3, 0, 1, vcc
	v_add_u32_e32 v9, 0xfffffc10, v9
	v_or_b32_e32 v3, v12, v3
	v_lshl_or_b32 v11, v9, 12, v2
	v_cmp_gt_i32_e32 vcc, 1, v9
	v_cndmask_b32_e32 v3, v11, v3, vcc
	v_and_b32_e32 v11, 7, v3
	v_cmp_lt_i32_e32 vcc, 5, v11
	v_cmp_eq_u32_e64 s[0:1], 3, v11
	v_lshrrev_b32_e32 v11, 16, v8
	v_lshrrev_b32_e32 v3, 2, v3
	s_or_b64 vcc, s[0:1], vcc
	s_waitcnt vmcnt(3)
	v_mul_f16_sdwa v12, v11, v13 dst_sel:DWORD dst_unused:UNUSED_PAD src0_sel:DWORD src1_sel:WORD_1
	v_addc_co_u32_e32 v3, vcc, 0, v3, vcc
	v_fma_f16 v12, v8, v13, v12
	v_cmp_gt_i32_e32 vcc, 31, v9
	v_cvt_f32_f16_e32 v12, v12
	v_cndmask_b32_e32 v3, v4, v3, vcc
	v_cmp_ne_u32_e32 vcc, 0, v2
	v_cndmask_b32_e64 v2, 0, 1, vcc
	v_lshl_or_b32 v2, v2, 9, v4
	v_cmp_eq_u32_e32 vcc, s17, v9
	v_cndmask_b32_e32 v9, v3, v2, vcc
	v_cvt_f64_f32_e32 v[2:3], v12
	v_lshrrev_b32_e32 v10, 16, v10
	v_and_or_b32 v9, v10, s18, v9
	v_and_b32_e32 v7, 0xffff, v7
	v_mul_f64 v[2:3], v[2:3], s[14:15]
	v_lshl_or_b32 v7, v9, 16, v7
	v_mov_b32_e32 v9, s2
	v_add_co_u32_e32 v5, vcc, s3, v5
	v_addc_co_u32_e32 v6, vcc, v6, v9, vcc
	global_store_dword v[5:6], v7, off
	v_and_or_b32 v2, v3, s10, v2
	v_cmp_ne_u32_e32 vcc, 0, v2
	v_cndmask_b32_e64 v2, 0, 1, vcc
	v_lshrrev_b32_e32 v7, 8, v3
	v_bfe_u32 v9, v3, 20, 11
	v_and_or_b32 v2, v7, s16, v2
	v_sub_u32_e32 v10, 0x3f1, v9
	v_or_b32_e32 v7, 0x1000, v2
	v_med3_i32 v10, v10, 0, 13
	v_lshrrev_b32_e32 v12, v10, v7
	v_lshlrev_b32_e32 v10, v10, v12
	v_mul_f16_sdwa v8, v8, v13 dst_sel:DWORD dst_unused:UNUSED_PAD src0_sel:DWORD src1_sel:WORD_1
	v_cmp_ne_u32_e32 vcc, v10, v7
	v_fma_f16 v8, v13, v11, -v8
	v_cndmask_b32_e64 v7, 0, 1, vcc
	v_add_u32_e32 v9, 0xfffffc10, v9
	v_cvt_f32_f16_e32 v8, v8
	v_or_b32_e32 v7, v12, v7
	v_lshl_or_b32 v10, v9, 12, v2
	v_cmp_gt_i32_e32 vcc, 1, v9
	v_cndmask_b32_e32 v7, v10, v7, vcc
	v_and_b32_e32 v10, 7, v7
	v_cmp_lt_i32_e32 vcc, 5, v10
	v_cmp_eq_u32_e64 s[0:1], 3, v10
	v_lshrrev_b32_e32 v10, 2, v7
	v_cvt_f64_f32_e32 v[7:8], v8
	s_or_b64 vcc, s[0:1], vcc
	v_addc_co_u32_e32 v10, vcc, 0, v10, vcc
	v_mul_f64 v[7:8], v[7:8], s[14:15]
	v_cmp_gt_i32_e32 vcc, 31, v9
	v_cndmask_b32_e32 v10, v4, v10, vcc
	v_cmp_ne_u32_e32 vcc, 0, v2
	v_cndmask_b32_e64 v2, 0, 1, vcc
	v_lshl_or_b32 v2, v2, 9, v4
	v_cmp_eq_u32_e32 vcc, s17, v9
	v_cndmask_b32_e32 v2, v10, v2, vcc
	v_lshrrev_b32_e32 v3, 16, v3
	v_and_or_b32 v11, v3, s18, v2
	v_and_or_b32 v2, v8, s10, v7
	v_cmp_ne_u32_e32 vcc, 0, v2
	v_cndmask_b32_e64 v2, 0, 1, vcc
	v_lshrrev_b32_e32 v3, 8, v8
	v_and_or_b32 v7, v3, s16, v2
	v_bfe_u32 v3, v8, 20, 11
	v_sub_u32_e32 v9, 0x3f1, v3
	v_or_b32_e32 v2, 0x1000, v7
	v_med3_i32 v9, v9, 0, 13
	v_lshrrev_b32_e32 v10, v9, v2
	v_lshlrev_b32_e32 v9, v9, v10
	v_cmp_ne_u32_e32 vcc, v9, v2
	v_cndmask_b32_e64 v2, 0, 1, vcc
	v_add_u32_e32 v9, 0xfffffc10, v3
	v_or_b32_e32 v2, v10, v2
	v_lshl_or_b32 v3, v9, 12, v7
	v_cmp_gt_i32_e32 vcc, 1, v9
	v_cndmask_b32_e32 v2, v3, v2, vcc
	v_and_b32_e32 v3, 7, v2
	v_cmp_lt_i32_e32 vcc, 5, v3
	v_cmp_eq_u32_e64 s[0:1], 3, v3
	v_lshrrev_b32_e32 v2, 2, v2
	s_or_b64 vcc, s[0:1], vcc
	v_addc_co_u32_e32 v10, vcc, 0, v2, vcc
	v_add_u32_e32 v2, 0x1600, v35
	ds_read2_b32 v[2:3], v2 offset0:22 offset1:152
	v_cmp_gt_i32_e32 vcc, 31, v9
	v_cndmask_b32_e32 v10, v4, v10, vcc
	v_cmp_ne_u32_e32 vcc, 0, v7
	v_cndmask_b32_e64 v7, 0, 1, vcc
	s_waitcnt lgkmcnt(0)
	v_lshrrev_b32_e32 v12, 16, v2
	s_waitcnt vmcnt(3)
	v_mul_f16_sdwa v13, v12, v14 dst_sel:DWORD dst_unused:UNUSED_PAD src0_sel:DWORD src1_sel:WORD_1
	v_fma_f16 v13, v2, v14, v13
	v_cvt_f32_f16_e32 v13, v13
	v_lshl_or_b32 v7, v7, 9, v4
	v_cmp_eq_u32_e32 vcc, s17, v9
	v_cndmask_b32_e32 v7, v10, v7, vcc
	v_cvt_f64_f32_e32 v[9:10], v13
	v_lshrrev_b32_e32 v8, 16, v8
	v_and_or_b32 v13, v8, s18, v7
	v_add_co_u32_e32 v5, vcc, s3, v5
	v_mul_f64 v[7:8], v[9:10], s[14:15]
	v_mov_b32_e32 v10, s2
	v_and_b32_e32 v11, 0xffff, v11
	v_addc_co_u32_e32 v6, vcc, v6, v10, vcc
	v_lshl_or_b32 v9, v13, 16, v11
	global_store_dword v[5:6], v9, off
	v_mul_f16_sdwa v2, v2, v14 dst_sel:DWORD dst_unused:UNUSED_PAD src0_sel:DWORD src1_sel:WORD_1
	v_and_or_b32 v7, v8, s10, v7
	v_cmp_ne_u32_e32 vcc, 0, v7
	v_cndmask_b32_e64 v7, 0, 1, vcc
	v_lshrrev_b32_e32 v9, 8, v8
	v_bfe_u32 v10, v8, 20, 11
	v_and_or_b32 v7, v9, s16, v7
	v_sub_u32_e32 v11, 0x3f1, v10
	v_or_b32_e32 v9, 0x1000, v7
	v_med3_i32 v11, v11, 0, 13
	v_lshrrev_b32_e32 v13, v11, v9
	v_lshlrev_b32_e32 v11, v11, v13
	v_cmp_ne_u32_e32 vcc, v11, v9
	v_fma_f16 v2, v14, v12, -v2
	v_cndmask_b32_e64 v9, 0, 1, vcc
	v_add_u32_e32 v11, 0xfffffc10, v10
	v_cvt_f32_f16_e32 v2, v2
	v_or_b32_e32 v9, v13, v9
	v_lshl_or_b32 v10, v11, 12, v7
	v_cmp_gt_i32_e32 vcc, 1, v11
	v_cndmask_b32_e32 v9, v10, v9, vcc
	v_and_b32_e32 v10, 7, v9
	v_cmp_lt_i32_e32 vcc, 5, v10
	v_cmp_eq_u32_e64 s[0:1], 3, v10
	v_lshrrev_b32_e32 v12, 2, v9
	v_cvt_f64_f32_e32 v[9:10], v2
	s_or_b64 vcc, s[0:1], vcc
	v_addc_co_u32_e32 v2, vcc, 0, v12, vcc
	v_mul_f64 v[9:10], v[9:10], s[14:15]
	v_cmp_gt_i32_e32 vcc, 31, v11
	v_cndmask_b32_e32 v2, v4, v2, vcc
	v_cmp_ne_u32_e32 vcc, 0, v7
	v_cndmask_b32_e64 v7, 0, 1, vcc
	v_lshl_or_b32 v7, v7, 9, v4
	v_cmp_eq_u32_e32 vcc, s17, v11
	v_cndmask_b32_e32 v2, v2, v7, vcc
	v_lshrrev_b32_e32 v7, 16, v8
	v_and_or_b32 v2, v7, s18, v2
	v_and_or_b32 v7, v10, s10, v9
	v_cmp_ne_u32_e32 vcc, 0, v7
	v_cndmask_b32_e64 v7, 0, 1, vcc
	v_lshrrev_b32_e32 v8, 8, v10
	v_bfe_u32 v9, v10, 20, 11
	v_and_or_b32 v7, v8, s16, v7
	v_sub_u32_e32 v11, 0x3f1, v9
	v_or_b32_e32 v8, 0x1000, v7
	v_med3_i32 v11, v11, 0, 13
	v_lshrrev_b32_e32 v12, v11, v8
	v_lshlrev_b32_e32 v11, v11, v12
	v_cmp_ne_u32_e32 vcc, v11, v8
	v_cndmask_b32_e64 v8, 0, 1, vcc
	v_add_u32_e32 v9, 0xfffffc10, v9
	v_or_b32_e32 v8, v12, v8
	v_lshl_or_b32 v11, v9, 12, v7
	v_cmp_gt_i32_e32 vcc, 1, v9
	v_cndmask_b32_e32 v8, v11, v8, vcc
	v_and_b32_e32 v11, 7, v8
	v_cmp_lt_i32_e32 vcc, 5, v11
	v_cmp_eq_u32_e64 s[0:1], 3, v11
	v_lshrrev_b32_e32 v8, 2, v8
	s_or_b64 vcc, s[0:1], vcc
	v_addc_co_u32_e32 v8, vcc, 0, v8, vcc
	v_cmp_gt_i32_e32 vcc, 31, v9
	v_cndmask_b32_e32 v8, v4, v8, vcc
	v_cmp_ne_u32_e32 vcc, 0, v7
	v_cndmask_b32_e64 v7, 0, 1, vcc
	v_lshl_or_b32 v7, v7, 9, v4
	v_cmp_eq_u32_e32 vcc, s17, v9
	v_cndmask_b32_e32 v7, v8, v7, vcc
	v_lshrrev_b32_e32 v8, 16, v10
	v_and_or_b32 v7, v8, s18, v7
	v_and_b32_e32 v2, 0xffff, v2
	v_lshl_or_b32 v2, v7, 16, v2
	v_mov_b32_e32 v7, s2
	v_add_co_u32_e32 v5, vcc, s3, v5
	v_addc_co_u32_e32 v6, vcc, v6, v7, vcc
	global_store_dword v[5:6], v2, off
	global_load_dword v2, v[0:1], off offset:2144
	v_lshrrev_b32_e32 v7, 16, v3
	s_waitcnt vmcnt(0)
	v_mul_f16_sdwa v0, v7, v2 dst_sel:DWORD dst_unused:UNUSED_PAD src0_sel:DWORD src1_sel:WORD_1
	v_fma_f16 v0, v3, v2, v0
	v_cvt_f32_f16_e32 v0, v0
	v_mul_f16_sdwa v3, v3, v2 dst_sel:DWORD dst_unused:UNUSED_PAD src0_sel:DWORD src1_sel:WORD_1
	v_fma_f16 v2, v2, v7, -v3
	v_cvt_f32_f16_e32 v2, v2
	v_cvt_f64_f32_e32 v[0:1], v0
	v_cvt_f64_f32_e32 v[2:3], v2
	v_mul_f64 v[0:1], v[0:1], s[14:15]
	v_mul_f64 v[2:3], v[2:3], s[14:15]
	v_and_or_b32 v0, v1, s10, v0
	v_cmp_ne_u32_e32 vcc, 0, v0
	v_cndmask_b32_e64 v0, 0, 1, vcc
	v_lshrrev_b32_e32 v8, 8, v1
	v_bfe_u32 v9, v1, 20, 11
	v_and_or_b32 v0, v8, s16, v0
	v_sub_u32_e32 v10, 0x3f1, v9
	v_or_b32_e32 v8, 0x1000, v0
	v_med3_i32 v10, v10, 0, 13
	v_lshrrev_b32_e32 v11, v10, v8
	v_lshlrev_b32_e32 v10, v10, v11
	v_cmp_ne_u32_e32 vcc, v10, v8
	v_cndmask_b32_e64 v8, 0, 1, vcc
	v_add_u32_e32 v9, 0xfffffc10, v9
	v_or_b32_e32 v8, v11, v8
	v_lshl_or_b32 v10, v9, 12, v0
	v_cmp_gt_i32_e32 vcc, 1, v9
	v_cndmask_b32_e32 v8, v10, v8, vcc
	v_and_b32_e32 v10, 7, v8
	v_cmp_lt_i32_e32 vcc, 5, v10
	v_cmp_eq_u32_e64 s[0:1], 3, v10
	v_lshrrev_b32_e32 v7, 2, v8
	s_or_b64 vcc, s[0:1], vcc
	v_addc_co_u32_e32 v7, vcc, 0, v7, vcc
	v_cmp_gt_i32_e32 vcc, 31, v9
	v_cndmask_b32_e32 v7, v4, v7, vcc
	v_cmp_ne_u32_e32 vcc, 0, v0
	v_cndmask_b32_e64 v0, 0, 1, vcc
	v_lshl_or_b32 v0, v0, 9, v4
	v_cmp_eq_u32_e32 vcc, s17, v9
	v_cndmask_b32_e32 v0, v7, v0, vcc
	v_lshrrev_b32_e32 v1, 16, v1
	v_and_or_b32 v0, v1, s18, v0
	v_and_or_b32 v1, v3, s10, v2
	v_cmp_ne_u32_e32 vcc, 0, v1
	v_cndmask_b32_e64 v1, 0, 1, vcc
	v_lshrrev_b32_e32 v2, 8, v3
	v_bfe_u32 v7, v3, 20, 11
	v_and_or_b32 v1, v2, s16, v1
	v_sub_u32_e32 v8, 0x3f1, v7
	v_or_b32_e32 v2, 0x1000, v1
	v_med3_i32 v8, v8, 0, 13
	v_lshrrev_b32_e32 v9, v8, v2
	v_lshlrev_b32_e32 v8, v8, v9
	v_cmp_ne_u32_e32 vcc, v8, v2
	v_cndmask_b32_e64 v2, 0, 1, vcc
	v_add_u32_e32 v7, 0xfffffc10, v7
	v_or_b32_e32 v2, v9, v2
	v_lshl_or_b32 v8, v7, 12, v1
	v_cmp_gt_i32_e32 vcc, 1, v7
	v_cndmask_b32_e32 v2, v8, v2, vcc
	v_and_b32_e32 v8, 7, v2
	v_cmp_lt_i32_e32 vcc, 5, v8
	v_cmp_eq_u32_e64 s[0:1], 3, v8
	v_lshrrev_b32_e32 v2, 2, v2
	s_or_b64 vcc, s[0:1], vcc
	v_addc_co_u32_e32 v2, vcc, 0, v2, vcc
	v_cmp_gt_i32_e32 vcc, 31, v7
	v_cndmask_b32_e32 v2, v4, v2, vcc
	v_cmp_ne_u32_e32 vcc, 0, v1
	v_cndmask_b32_e64 v1, 0, 1, vcc
	v_lshl_or_b32 v1, v1, 9, v4
	v_cmp_eq_u32_e32 vcc, s17, v7
	v_cndmask_b32_e32 v1, v2, v1, vcc
	v_lshrrev_b32_e32 v2, 16, v3
	v_and_or_b32 v1, v2, s18, v1
	v_and_b32_e32 v0, 0xffff, v0
	v_lshl_or_b32 v2, v1, 16, v0
	v_mov_b32_e32 v1, s2
	v_add_co_u32_e32 v0, vcc, s3, v5
	v_addc_co_u32_e32 v1, vcc, v6, v1, vcc
	global_store_dword v[0:1], v2, off
.LBB0_23:
	s_endpgm
	.section	.rodata,"a",@progbits
	.p2align	6, 0x0
	.amdhsa_kernel bluestein_single_fwd_len1690_dim1_half_op_CI_CI
		.amdhsa_group_segment_fixed_size 6760
		.amdhsa_private_segment_fixed_size 0
		.amdhsa_kernarg_size 104
		.amdhsa_user_sgpr_count 6
		.amdhsa_user_sgpr_private_segment_buffer 1
		.amdhsa_user_sgpr_dispatch_ptr 0
		.amdhsa_user_sgpr_queue_ptr 0
		.amdhsa_user_sgpr_kernarg_segment_ptr 1
		.amdhsa_user_sgpr_dispatch_id 0
		.amdhsa_user_sgpr_flat_scratch_init 0
		.amdhsa_user_sgpr_private_segment_size 0
		.amdhsa_uses_dynamic_stack 0
		.amdhsa_system_sgpr_private_segment_wavefront_offset 0
		.amdhsa_system_sgpr_workgroup_id_x 1
		.amdhsa_system_sgpr_workgroup_id_y 0
		.amdhsa_system_sgpr_workgroup_id_z 0
		.amdhsa_system_sgpr_workgroup_info 0
		.amdhsa_system_vgpr_workitem_id 0
		.amdhsa_next_free_vgpr 149
		.amdhsa_next_free_sgpr 35
		.amdhsa_reserve_vcc 1
		.amdhsa_reserve_flat_scratch 0
		.amdhsa_float_round_mode_32 0
		.amdhsa_float_round_mode_16_64 0
		.amdhsa_float_denorm_mode_32 3
		.amdhsa_float_denorm_mode_16_64 3
		.amdhsa_dx10_clamp 1
		.amdhsa_ieee_mode 1
		.amdhsa_fp16_overflow 0
		.amdhsa_exception_fp_ieee_invalid_op 0
		.amdhsa_exception_fp_denorm_src 0
		.amdhsa_exception_fp_ieee_div_zero 0
		.amdhsa_exception_fp_ieee_overflow 0
		.amdhsa_exception_fp_ieee_underflow 0
		.amdhsa_exception_fp_ieee_inexact 0
		.amdhsa_exception_int_div_zero 0
	.end_amdhsa_kernel
	.text
.Lfunc_end0:
	.size	bluestein_single_fwd_len1690_dim1_half_op_CI_CI, .Lfunc_end0-bluestein_single_fwd_len1690_dim1_half_op_CI_CI
                                        ; -- End function
	.section	.AMDGPU.csdata,"",@progbits
; Kernel info:
; codeLenInByte = 24920
; NumSgprs: 39
; NumVgprs: 149
; ScratchSize: 0
; MemoryBound: 0
; FloatMode: 240
; IeeeMode: 1
; LDSByteSize: 6760 bytes/workgroup (compile time only)
; SGPRBlocks: 4
; VGPRBlocks: 37
; NumSGPRsForWavesPerEU: 39
; NumVGPRsForWavesPerEU: 149
; Occupancy: 1
; WaveLimiterHint : 1
; COMPUTE_PGM_RSRC2:SCRATCH_EN: 0
; COMPUTE_PGM_RSRC2:USER_SGPR: 6
; COMPUTE_PGM_RSRC2:TRAP_HANDLER: 0
; COMPUTE_PGM_RSRC2:TGID_X_EN: 1
; COMPUTE_PGM_RSRC2:TGID_Y_EN: 0
; COMPUTE_PGM_RSRC2:TGID_Z_EN: 0
; COMPUTE_PGM_RSRC2:TIDIG_COMP_CNT: 0
	.type	__hip_cuid_e28f643752f97624,@object ; @__hip_cuid_e28f643752f97624
	.section	.bss,"aw",@nobits
	.globl	__hip_cuid_e28f643752f97624
__hip_cuid_e28f643752f97624:
	.byte	0                               ; 0x0
	.size	__hip_cuid_e28f643752f97624, 1

	.ident	"AMD clang version 19.0.0git (https://github.com/RadeonOpenCompute/llvm-project roc-6.4.0 25133 c7fe45cf4b819c5991fe208aaa96edf142730f1d)"
	.section	".note.GNU-stack","",@progbits
	.addrsig
	.addrsig_sym __hip_cuid_e28f643752f97624
	.amdgpu_metadata
---
amdhsa.kernels:
  - .args:
      - .actual_access:  read_only
        .address_space:  global
        .offset:         0
        .size:           8
        .value_kind:     global_buffer
      - .actual_access:  read_only
        .address_space:  global
        .offset:         8
        .size:           8
        .value_kind:     global_buffer
      - .actual_access:  read_only
        .address_space:  global
        .offset:         16
        .size:           8
        .value_kind:     global_buffer
      - .actual_access:  read_only
        .address_space:  global
        .offset:         24
        .size:           8
        .value_kind:     global_buffer
      - .actual_access:  read_only
        .address_space:  global
        .offset:         32
        .size:           8
        .value_kind:     global_buffer
      - .offset:         40
        .size:           8
        .value_kind:     by_value
      - .address_space:  global
        .offset:         48
        .size:           8
        .value_kind:     global_buffer
      - .address_space:  global
        .offset:         56
        .size:           8
        .value_kind:     global_buffer
      - .address_space:  global
        .offset:         64
        .size:           8
        .value_kind:     global_buffer
      - .address_space:  global
        .offset:         72
        .size:           8
        .value_kind:     global_buffer
      - .offset:         80
        .size:           4
        .value_kind:     by_value
      - .address_space:  global
        .offset:         88
        .size:           8
        .value_kind:     global_buffer
      - .address_space:  global
        .offset:         96
        .size:           8
        .value_kind:     global_buffer
    .group_segment_fixed_size: 6760
    .kernarg_segment_align: 8
    .kernarg_segment_size: 104
    .language:       OpenCL C
    .language_version:
      - 2
      - 0
    .max_flat_workgroup_size: 169
    .name:           bluestein_single_fwd_len1690_dim1_half_op_CI_CI
    .private_segment_fixed_size: 0
    .sgpr_count:     39
    .sgpr_spill_count: 0
    .symbol:         bluestein_single_fwd_len1690_dim1_half_op_CI_CI.kd
    .uniform_work_group_size: 1
    .uses_dynamic_stack: false
    .vgpr_count:     149
    .vgpr_spill_count: 0
    .wavefront_size: 64
amdhsa.target:   amdgcn-amd-amdhsa--gfx906
amdhsa.version:
  - 1
  - 2
...

	.end_amdgpu_metadata
